;; amdgpu-corpus repo=ROCm/rocFFT kind=compiled arch=gfx906 opt=O3
	.text
	.amdgcn_target "amdgcn-amd-amdhsa--gfx906"
	.amdhsa_code_object_version 6
	.protected	bluestein_single_back_len221_dim1_half_op_CI_CI ; -- Begin function bluestein_single_back_len221_dim1_half_op_CI_CI
	.globl	bluestein_single_back_len221_dim1_half_op_CI_CI
	.p2align	8
	.type	bluestein_single_back_len221_dim1_half_op_CI_CI,@function
bluestein_single_back_len221_dim1_half_op_CI_CI: ; @bluestein_single_back_len221_dim1_half_op_CI_CI
; %bb.0:
	v_mul_u32_u24_e32 v1, 0xf10, v0
	s_load_dwordx4 s[0:3], s[4:5], 0x28
	v_lshrrev_b32_e32 v1, 16, v1
	v_mad_u64_u32 v[12:13], s[6:7], s6, 7, v[1:2]
	v_mov_b32_e32 v13, 0
	s_waitcnt lgkmcnt(0)
	v_cmp_gt_u64_e32 vcc, s[0:1], v[12:13]
	s_and_saveexec_b64 s[0:1], vcc
	s_cbranch_execz .LBB0_15
; %bb.1:
	s_mov_b32 s0, 0x24924925
	v_mul_hi_u32 v2, v12, s0
	s_load_dwordx2 s[6:7], s[4:5], 0x0
	s_load_dwordx2 s[12:13], s[4:5], 0x38
	v_mul_lo_u16_e32 v1, 17, v1
	v_sub_u16_e32 v29, v0, v1
	v_sub_u32_e32 v3, v12, v2
	v_lshrrev_b32_e32 v3, 1, v3
	v_add_u32_e32 v2, v3, v2
	v_lshrrev_b32_e32 v2, 2, v2
	v_mul_lo_u32 v2, v2, 7
	v_cmp_gt_u16_e32 vcc, 13, v29
	v_lshlrev_b32_e32 v30, 2, v29
	v_sub_u32_e32 v0, v12, v2
	v_mul_u32_u24_e32 v15, 0xdd, v0
	v_lshlrev_b32_e32 v32, 2, v15
	s_and_saveexec_b64 s[14:15], vcc
	s_cbranch_execz .LBB0_3
; %bb.2:
	s_load_dwordx2 s[0:1], s[4:5], 0x18
	v_lshl_add_u32 v13, v29, 2, v32
	v_add_u32_e32 v14, v32, v30
	s_waitcnt lgkmcnt(0)
	s_load_dwordx4 s[8:11], s[0:1], 0x0
	s_waitcnt lgkmcnt(0)
	v_mad_u64_u32 v[0:1], s[0:1], s10, v12, 0
	v_mad_u64_u32 v[2:3], s[0:1], s8, v29, 0
	;; [unrolled: 1-line block ×4, first 2 shown]
	v_mov_b32_e32 v1, v4
	v_lshlrev_b64 v[0:1], 2, v[0:1]
	v_mov_b32_e32 v3, v5
	v_mov_b32_e32 v6, s3
	v_lshlrev_b64 v[2:3], 2, v[2:3]
	v_add_co_u32_e64 v5, s[0:1], s2, v0
	v_addc_co_u32_e64 v6, s[0:1], v6, v1, s[0:1]
	v_add_co_u32_e64 v0, s[0:1], v5, v2
	v_addc_co_u32_e64 v1, s[0:1], v6, v3, s[0:1]
	s_mul_i32 s0, s9, 52
	s_mul_hi_u32 s3, s8, 52
	s_add_i32 s3, s3, s0
	s_mul_i32 s2, s8, 52
	v_mov_b32_e32 v3, s3
	v_add_co_u32_e64 v2, s[0:1], s2, v0
	v_addc_co_u32_e64 v3, s[0:1], v1, v3, s[0:1]
	global_load_dword v4, v[0:1], off
	global_load_dword v7, v[2:3], off
	global_load_dword v8, v30, s[6:7]
	global_load_dword v9, v30, s[6:7] offset:52
	v_mov_b32_e32 v1, s3
	v_add_co_u32_e64 v0, s[0:1], s2, v2
	v_addc_co_u32_e64 v1, s[0:1], v3, v1, s[0:1]
	global_load_dword v2, v[0:1], off
	global_load_dword v3, v30, s[6:7] offset:104
	v_mov_b32_e32 v10, s3
	v_add_co_u32_e64 v0, s[0:1], s2, v0
	v_addc_co_u32_e64 v1, s[0:1], v1, v10, s[0:1]
	global_load_dword v10, v[0:1], off
	global_load_dword v11, v30, s[6:7] offset:156
	v_mov_b32_e32 v20, s3
	v_add_co_u32_e64 v0, s[0:1], s2, v0
	v_addc_co_u32_e64 v1, s[0:1], v1, v20, s[0:1]
	global_load_dword v16, v30, s[6:7] offset:208
	global_load_dword v17, v30, s[6:7] offset:260
	;; [unrolled: 1-line block ×4, first 2 shown]
	global_load_dword v20, v[0:1], off
	v_mov_b32_e32 v21, s3
	v_add_co_u32_e64 v0, s[0:1], s2, v0
	v_addc_co_u32_e64 v1, s[0:1], v1, v21, s[0:1]
	global_load_dword v21, v[0:1], off
	v_mov_b32_e32 v22, s3
	v_add_co_u32_e64 v0, s[0:1], s2, v0
	v_addc_co_u32_e64 v1, s[0:1], v1, v22, s[0:1]
	;; [unrolled: 4-line block ×4, first 2 shown]
	v_mov_b32_e32 v36, s3
	s_waitcnt vmcnt(15)
	v_lshrrev_b32_e32 v25, 16, v4
	s_waitcnt vmcnt(13)
	v_mul_f16_sdwa v26, v8, v4 dst_sel:DWORD dst_unused:UNUSED_PAD src0_sel:WORD_1 src1_sel:DWORD
	v_mul_f16_sdwa v27, v8, v25 dst_sel:DWORD dst_unused:UNUSED_PAD src0_sel:WORD_1 src1_sel:DWORD
	v_fma_f16 v25, v8, v25, -v26
	v_lshrrev_b32_e32 v26, 16, v7
	s_waitcnt vmcnt(12)
	v_mul_f16_sdwa v28, v9, v7 dst_sel:DWORD dst_unused:UNUSED_PAD src0_sel:WORD_1 src1_sel:DWORD
	v_fma_f16 v4, v8, v4, v27
	v_mul_f16_sdwa v8, v9, v26 dst_sel:DWORD dst_unused:UNUSED_PAD src0_sel:WORD_1 src1_sel:DWORD
	s_waitcnt vmcnt(11)
	v_lshrrev_b32_e32 v27, 16, v2
	v_fma_f16 v26, v9, v26, -v28
	s_waitcnt vmcnt(10)
	v_mul_f16_sdwa v28, v3, v2 dst_sel:DWORD dst_unused:UNUSED_PAD src0_sel:WORD_1 src1_sel:DWORD
	v_fma_f16 v7, v9, v7, v8
	v_mul_f16_sdwa v8, v3, v27 dst_sel:DWORD dst_unused:UNUSED_PAD src0_sel:WORD_1 src1_sel:DWORD
	v_pack_b32_f16 v4, v4, v25
	v_fma_f16 v9, v3, v27, -v28
	v_fma_f16 v2, v3, v2, v8
	ds_write_b32 v13, v4
	v_pack_b32_f16 v4, v7, v26
	v_pack_b32_f16 v2, v2, v9
	global_load_dword v8, v[0:1], off
	ds_write2_b32 v14, v4, v2 offset0:13 offset1:26
	v_mov_b32_e32 v2, s3
	v_add_co_u32_e64 v0, s[0:1], s2, v0
	s_waitcnt vmcnt(10)
	v_lshrrev_b32_e32 v25, 16, v10
	v_addc_co_u32_e64 v1, s[0:1], v1, v2, s[0:1]
	s_waitcnt vmcnt(9)
	v_mul_f16_sdwa v27, v11, v10 dst_sel:DWORD dst_unused:UNUSED_PAD src0_sel:WORD_1 src1_sel:DWORD
	v_mul_f16_sdwa v3, v11, v25 dst_sel:DWORD dst_unused:UNUSED_PAD src0_sel:WORD_1 src1_sel:DWORD
	global_load_dword v9, v[0:1], off
	v_add_co_u32_e64 v0, s[0:1], s2, v0
	v_fma_f16 v7, v11, v25, -v27
	v_fma_f16 v3, v11, v10, v3
	v_addc_co_u32_e64 v1, s[0:1], v1, v2, s[0:1]
	global_load_dword v10, v30, s[6:7] offset:416
	global_load_dword v11, v[0:1], off
	global_load_dword v13, v30, s[6:7] offset:468
	global_load_dword v24, v30, s[6:7] offset:520
	v_add_co_u32_e64 v0, s[0:1], s2, v0
	v_addc_co_u32_e64 v1, s[0:1], v1, v2, s[0:1]
	global_load_dword v25, v[0:1], off
	v_add_co_u32_e64 v0, s[0:1], s2, v0
	v_addc_co_u32_e64 v1, s[0:1], v1, v2, s[0:1]
	global_load_dword v26, v[0:1], off
	global_load_dword v27, v30, s[6:7] offset:572
	global_load_dword v28, v30, s[6:7] offset:624
	v_add_co_u32_e64 v0, s[0:1], s2, v0
	v_addc_co_u32_e64 v1, s[0:1], v1, v2, s[0:1]
	global_load_dword v31, v[0:1], off
	v_add_co_u32_e64 v0, s[0:1], s2, v0
	v_or_b32_e32 v4, 0xd0, v29
	v_pack_b32_f16 v7, v3, v7
	v_addc_co_u32_e64 v1, s[0:1], v1, v2, s[0:1]
	v_mad_u64_u32 v[2:3], s[0:1], s8, v4, 0
	global_load_dword v33, v[0:1], off
	global_load_dword v34, v30, s[6:7] offset:676
	global_load_dword v35, v30, s[6:7] offset:728
	v_mad_u64_u32 v[3:4], s[0:1], s9, v4, v[3:4]
	v_add_co_u32_e64 v0, s[0:1], s2, v0
	v_addc_co_u32_e64 v1, s[0:1], v1, v36, s[0:1]
	global_load_dword v4, v[0:1], off
	global_load_dword v36, v30, s[6:7] offset:780
	v_lshlrev_b64 v[0:1], 2, v[2:3]
	v_add_co_u32_e64 v0, s[0:1], v5, v0
	v_addc_co_u32_e64 v1, s[0:1], v6, v1, s[0:1]
	global_load_dword v2, v[0:1], off
	global_load_dword v3, v30, s[6:7] offset:832
	s_waitcnt vmcnt(21)
	v_lshrrev_b32_e32 v0, 16, v20
	v_mul_f16_sdwa v1, v16, v0 dst_sel:DWORD dst_unused:UNUSED_PAD src0_sel:WORD_1 src1_sel:DWORD
	v_mul_f16_sdwa v5, v16, v20 dst_sel:DWORD dst_unused:UNUSED_PAD src0_sel:WORD_1 src1_sel:DWORD
	v_fma_f16 v1, v16, v20, v1
	v_fma_f16 v0, v16, v0, -v5
	v_pack_b32_f16 v0, v1, v0
	ds_write2_b32 v14, v7, v0 offset0:39 offset1:52
	s_waitcnt vmcnt(20)
	v_lshrrev_b32_e32 v0, 16, v21
	v_mul_f16_sdwa v1, v17, v0 dst_sel:DWORD dst_unused:UNUSED_PAD src0_sel:WORD_1 src1_sel:DWORD
	v_mul_f16_sdwa v5, v17, v21 dst_sel:DWORD dst_unused:UNUSED_PAD src0_sel:WORD_1 src1_sel:DWORD
	v_fma_f16 v1, v17, v21, v1
	v_fma_f16 v0, v17, v0, -v5
	v_pack_b32_f16 v0, v1, v0
	s_waitcnt vmcnt(19)
	v_lshrrev_b32_e32 v1, 16, v22
	v_mul_f16_sdwa v5, v18, v1 dst_sel:DWORD dst_unused:UNUSED_PAD src0_sel:WORD_1 src1_sel:DWORD
	v_mul_f16_sdwa v6, v18, v22 dst_sel:DWORD dst_unused:UNUSED_PAD src0_sel:WORD_1 src1_sel:DWORD
	v_fma_f16 v5, v18, v22, v5
	v_fma_f16 v1, v18, v1, -v6
	v_pack_b32_f16 v1, v5, v1
	ds_write2_b32 v14, v0, v1 offset0:65 offset1:78
	s_waitcnt vmcnt(18)
	v_lshrrev_b32_e32 v0, 16, v23
	v_mul_f16_sdwa v1, v19, v0 dst_sel:DWORD dst_unused:UNUSED_PAD src0_sel:WORD_1 src1_sel:DWORD
	v_mul_f16_sdwa v5, v19, v23 dst_sel:DWORD dst_unused:UNUSED_PAD src0_sel:WORD_1 src1_sel:DWORD
	v_fma_f16 v1, v19, v23, v1
	v_fma_f16 v0, v19, v0, -v5
	v_pack_b32_f16 v0, v1, v0
	s_waitcnt vmcnt(17)
	v_lshrrev_b32_e32 v1, 16, v8
	s_waitcnt vmcnt(15)
	v_mul_f16_sdwa v5, v10, v1 dst_sel:DWORD dst_unused:UNUSED_PAD src0_sel:WORD_1 src1_sel:DWORD
	v_mul_f16_sdwa v6, v10, v8 dst_sel:DWORD dst_unused:UNUSED_PAD src0_sel:WORD_1 src1_sel:DWORD
	v_fma_f16 v5, v10, v8, v5
	v_fma_f16 v1, v10, v1, -v6
	v_pack_b32_f16 v1, v5, v1
	ds_write2_b32 v14, v0, v1 offset0:91 offset1:104
	v_lshrrev_b32_e32 v0, 16, v9
	s_waitcnt vmcnt(13)
	v_mul_f16_sdwa v1, v13, v0 dst_sel:DWORD dst_unused:UNUSED_PAD src0_sel:WORD_1 src1_sel:DWORD
	v_mul_f16_sdwa v5, v13, v9 dst_sel:DWORD dst_unused:UNUSED_PAD src0_sel:WORD_1 src1_sel:DWORD
	v_fma_f16 v1, v13, v9, v1
	v_fma_f16 v0, v13, v0, -v5
	v_pack_b32_f16 v0, v1, v0
	v_lshrrev_b32_e32 v1, 16, v11
	s_waitcnt vmcnt(12)
	v_mul_f16_sdwa v5, v24, v1 dst_sel:DWORD dst_unused:UNUSED_PAD src0_sel:WORD_1 src1_sel:DWORD
	v_mul_f16_sdwa v6, v24, v11 dst_sel:DWORD dst_unused:UNUSED_PAD src0_sel:WORD_1 src1_sel:DWORD
	v_fma_f16 v5, v24, v11, v5
	v_fma_f16 v1, v24, v1, -v6
	v_pack_b32_f16 v1, v5, v1
	ds_write2_b32 v14, v0, v1 offset0:117 offset1:130
	s_waitcnt vmcnt(11)
	v_lshrrev_b32_e32 v0, 16, v25
	s_waitcnt vmcnt(9)
	v_mul_f16_sdwa v1, v27, v0 dst_sel:DWORD dst_unused:UNUSED_PAD src0_sel:WORD_1 src1_sel:DWORD
	v_mul_f16_sdwa v5, v27, v25 dst_sel:DWORD dst_unused:UNUSED_PAD src0_sel:WORD_1 src1_sel:DWORD
	v_fma_f16 v1, v27, v25, v1
	v_fma_f16 v0, v27, v0, -v5
	v_pack_b32_f16 v0, v1, v0
	v_lshrrev_b32_e32 v1, 16, v26
	s_waitcnt vmcnt(8)
	v_mul_f16_sdwa v5, v28, v1 dst_sel:DWORD dst_unused:UNUSED_PAD src0_sel:WORD_1 src1_sel:DWORD
	v_mul_f16_sdwa v6, v28, v26 dst_sel:DWORD dst_unused:UNUSED_PAD src0_sel:WORD_1 src1_sel:DWORD
	v_fma_f16 v5, v28, v26, v5
	v_fma_f16 v1, v28, v1, -v6
	v_pack_b32_f16 v1, v5, v1
	ds_write2_b32 v14, v0, v1 offset0:143 offset1:156
	s_waitcnt vmcnt(7)
	;; [unrolled: 16-line block ×3, first 2 shown]
	v_lshrrev_b32_e32 v0, 16, v4
	s_waitcnt vmcnt(2)
	v_mul_f16_sdwa v1, v36, v0 dst_sel:DWORD dst_unused:UNUSED_PAD src0_sel:WORD_1 src1_sel:DWORD
	v_fma_f16 v1, v36, v4, v1
	v_mul_f16_sdwa v4, v36, v4 dst_sel:DWORD dst_unused:UNUSED_PAD src0_sel:WORD_1 src1_sel:DWORD
	v_fma_f16 v0, v36, v0, -v4
	v_pack_b32_f16 v0, v1, v0
	s_waitcnt vmcnt(1)
	v_lshrrev_b32_e32 v1, 16, v2
	s_waitcnt vmcnt(0)
	v_mul_f16_sdwa v4, v3, v1 dst_sel:DWORD dst_unused:UNUSED_PAD src0_sel:WORD_1 src1_sel:DWORD
	v_fma_f16 v4, v3, v2, v4
	v_mul_f16_sdwa v2, v3, v2 dst_sel:DWORD dst_unused:UNUSED_PAD src0_sel:WORD_1 src1_sel:DWORD
	v_fma_f16 v1, v3, v1, -v2
	v_pack_b32_f16 v1, v4, v1
	ds_write2_b32 v14, v0, v1 offset0:195 offset1:208
.LBB0_3:
	s_or_b64 exec, exec, s[14:15]
	s_load_dwordx2 s[2:3], s[4:5], 0x20
	s_load_dwordx2 s[0:1], s[4:5], 0x8
	s_waitcnt lgkmcnt(0)
	s_barrier
	s_waitcnt lgkmcnt(0)
                                        ; implicit-def: $vgpr0
                                        ; implicit-def: $vgpr3
                                        ; implicit-def: $vgpr21
                                        ; implicit-def: $vgpr10
                                        ; implicit-def: $vgpr22
                                        ; implicit-def: $vgpr39
                                        ; implicit-def: $vgpr17
                                        ; implicit-def: $vgpr41
                                        ; implicit-def: $vgpr42
                                        ; implicit-def: $vgpr19
                                        ; implicit-def: $vgpr43
                                        ; implicit-def: $vgpr44
                                        ; implicit-def: $vgpr25
                                        ; implicit-def: $vgpr45
                                        ; implicit-def: $vgpr31
                                        ; implicit-def: $vgpr9
                                        ; implicit-def: $vgpr40
                                        ; implicit-def: $vgpr26
                                        ; implicit-def: $vgpr7
                                        ; implicit-def: $vgpr28
                                        ; implicit-def: $vgpr23
                                        ; implicit-def: $vgpr5
                                        ; implicit-def: $vgpr24
                                        ; implicit-def: $vgpr27
                                        ; implicit-def: $vgpr38
	s_and_saveexec_b64 s[4:5], vcc
	s_cbranch_execz .LBB0_5
; %bb.4:
	v_lshl_add_u32 v13, v15, 2, v30
	ds_read2_b32 v[0:1], v13 offset1:13
	ds_read2_b32 v[4:5], v13 offset0:26 offset1:39
	ds_read2_b32 v[6:7], v13 offset0:52 offset1:65
	;; [unrolled: 1-line block ×7, first 2 shown]
	ds_read_b32 v25, v13 offset:832
	s_waitcnt lgkmcnt(8)
	v_lshrrev_b32_e32 v38, 16, v1
	s_waitcnt lgkmcnt(7)
	v_lshrrev_b32_e32 v27, 16, v4
	v_lshrrev_b32_e32 v24, 16, v5
	s_waitcnt lgkmcnt(6)
	v_lshrrev_b32_e32 v23, 16, v6
	;; [unrolled: 3-line block ×8, first 2 shown]
.LBB0_5:
	s_or_b64 exec, exec, s[4:5]
	v_sub_f16_e32 v63, v38, v45
	v_add_f16_e32 v46, v25, v1
	s_movk_i32 s8, 0x39e9
	v_mul_f16_e32 v53, 0xb964, v63
	v_sub_f16_e32 v68, v27, v44
	v_fma_f16 v13, v46, s8, v53
	s_movk_i32 s9, 0x3722
	v_mul_f16_e32 v56, 0xbb29, v63
	s_movk_i32 s10, 0x2de8
	v_add_f16_e32 v47, v20, v4
	v_mul_f16_e32 v55, 0xbbf7, v68
	v_add_f16_e32 v13, v13, v0
	v_fma_f16 v14, v46, s9, v56
	v_fma_f16 v16, v47, s10, v55
	s_mov_b32 s11, 0xb8d2
	v_mul_f16_e32 v58, 0xba62, v68
	v_sub_f16_e32 v72, v24, v43
	v_add_f16_e32 v14, v14, v0
	v_add_f16_e32 v13, v16, v13
	v_fma_f16 v16, v47, s11, v58
	v_add_f16_e32 v48, v19, v5
	v_mul_f16_e32 v57, 0xba62, v72
	v_add_f16_e32 v14, v16, v14
	v_fma_f16 v16, v48, s11, v57
	s_mov_b32 s14, 0xbbdd
	v_mul_f16_e32 v62, 0x31e1, v72
	v_sub_f16_e32 v79, v23, v42
	v_add_f16_e32 v13, v16, v13
	v_fma_f16 v16, v48, s14, v62
	v_add_f16_e32 v49, v18, v6
	v_mul_f16_e32 v61, 0xb1e1, v79
	v_add_f16_e32 v14, v16, v14
	v_fma_f16 v16, v49, s14, v61
	s_mov_b32 s15, 0xb461
	v_mul_f16_e32 v66, 0x3bb2, v79
	v_sub_f16_e32 v86, v28, v41
	v_add_f16_e32 v13, v16, v13
	v_fma_f16 v16, v49, s15, v66
	s_mov_b32 s16, 0xbacd
	v_add_f16_e32 v50, v17, v7
	v_mul_f16_e32 v65, 0x3836, v86
	v_add_f16_e32 v14, v16, v14
	v_fma_f16 v16, v50, s16, v65
	v_mul_f16_e32 v71, 0x3964, v86
	v_sub_f16_e32 v90, v26, v39
	v_add_f16_e32 v13, v16, v13
	v_fma_f16 v16, v50, s8, v71
	v_add_f16_e32 v51, v11, v8
	v_mul_f16_e32 v69, 0x3bb2, v90
	v_add_f16_e32 v14, v16, v14
	v_fma_f16 v16, v51, s15, v69
	s_movk_i32 s17, 0x3b76
	v_mul_f16_e32 v75, 0xb5c8, v90
	v_sub_f16_e32 v95, v40, v22
	v_add_f16_e32 v13, v16, v13
	v_fma_f16 v16, v51, s17, v75
	v_add_f16_e32 v52, v10, v9
	v_mul_f16_e32 v74, 0x3b29, v95
	v_add_f16_e32 v14, v16, v14
	v_fma_f16 v16, v52, s9, v74
	v_mul_f16_e32 v82, 0xbbf7, v95
	v_sub_f16_e32 v102, v31, v21
	v_add_f16_e32 v13, v16, v13
	v_fma_f16 v16, v52, s10, v82
	v_add_f16_e32 v54, v3, v2
	v_mul_f16_e32 v80, 0x35c8, v102
	v_add_f16_e32 v16, v16, v14
	v_fma_f16 v14, v54, s17, v80
	v_mul_f16_e32 v87, 0xb836, v102
	v_add_f16_e32 v14, v14, v13
	v_fma_f16 v13, v54, s16, v87
	;; [unrolled: 3-line block ×3, first 2 shown]
	v_mul_f16_e32 v78, 0xb964, v68
	v_sub_f16_e32 v121, v1, v25
	v_add_f16_e32 v16, v16, v0
	v_fma_f16 v33, v47, s8, v78
	v_add_f16_e32 v59, v45, v38
	v_mul_f16_e32 v83, 0xb5c8, v121
	v_sub_f16_e32 v122, v4, v20
	v_add_f16_e32 v16, v33, v16
	v_fma_f16 v33, v59, s17, -v83
	v_add_f16_e32 v60, v44, v27
	v_mul_f16_e32 v84, 0xb964, v122
	v_add_f16_sdwa v33, v33, v0 dst_sel:DWORD dst_unused:UNUSED_PAD src0_sel:DWORD src1_sel:WORD_1
	v_fma_f16 v34, v60, s8, -v84
	v_mul_f16_e32 v91, 0xb964, v121
	v_add_f16_e32 v33, v34, v33
	v_fma_f16 v34, v59, s8, -v91
	v_mul_f16_e32 v92, 0xbbf7, v122
	v_add_f16_sdwa v34, v34, v0 dst_sel:DWORD dst_unused:UNUSED_PAD src0_sel:DWORD src1_sel:WORD_1
	v_fma_f16 v35, v60, s10, -v92
	v_mul_f16_e32 v99, 0xbb29, v121
	v_add_f16_e32 v34, v35, v34
	v_fma_f16 v35, v59, s9, -v99
	v_mul_f16_e32 v100, 0xba62, v122
	v_add_f16_sdwa v35, v35, v0 dst_sel:DWORD dst_unused:UNUSED_PAD src0_sel:DWORD src1_sel:WORD_1
	v_fma_f16 v36, v60, s11, -v100
	v_mul_f16_e32 v105, 0xbbf7, v63
	v_add_f16_e32 v35, v36, v35
	v_fma_f16 v36, v46, s10, v105
	v_mul_f16_e32 v106, 0xb1e1, v68
	v_add_f16_e32 v36, v36, v0
	v_fma_f16 v37, v47, s14, v106
	v_mul_f16_e32 v115, 0xbbf7, v121
	v_add_f16_e32 v36, v37, v36
	v_fma_f16 v37, v59, s10, -v115
	v_mul_f16_e32 v116, 0xb1e1, v122
	v_add_f16_sdwa v37, v37, v0 dst_sel:DWORD dst_unused:UNUSED_PAD src0_sel:DWORD src1_sel:WORD_1
	v_fma_f16 v64, v60, s14, -v116
	v_mul_f16_e32 v85, 0xbb29, v72
	v_add_f16_e32 v37, v64, v37
	v_fma_f16 v64, v48, s9, v85
	v_sub_f16_e32 v130, v5, v19
	v_add_f16_e32 v16, v64, v16
	v_add_f16_e32 v64, v43, v24
	v_mul_f16_e32 v89, 0xbb29, v130
	v_fma_f16 v67, v64, s9, -v89
	v_mul_f16_e32 v97, 0xba62, v130
	v_add_f16_e32 v33, v67, v33
	v_fma_f16 v67, v64, s11, -v97
	v_mul_f16_e32 v108, 0x31e1, v130
	v_add_f16_e32 v34, v67, v34
	v_fma_f16 v67, v64, s14, -v108
	v_mul_f16_e32 v112, 0x3bb2, v72
	v_add_f16_e32 v35, v67, v35
	v_fma_f16 v67, v48, s15, v112
	v_mul_f16_e32 v120, 0x3bb2, v130
	v_add_f16_e32 v36, v67, v36
	v_fma_f16 v67, v64, s15, -v120
	v_mul_f16_e32 v88, 0xbbf7, v79
	v_add_f16_e32 v37, v67, v37
	v_fma_f16 v67, v49, s10, v88
	v_sub_f16_e32 v134, v6, v18
	v_add_f16_e32 v16, v67, v16
	v_add_f16_e32 v67, v42, v23
	v_mul_f16_e32 v94, 0xbbf7, v134
	v_fma_f16 v70, v67, s10, -v94
	v_mul_f16_e32 v103, 0xb1e1, v134
	v_add_f16_e32 v33, v70, v33
	v_fma_f16 v70, v67, s14, -v103
	v_mul_f16_e32 v111, 0x3bb2, v134
	v_add_f16_e32 v34, v70, v34
	v_fma_f16 v70, v67, s15, -v111
	v_mul_f16_e32 v118, 0x35c8, v79
	v_add_f16_e32 v35, v70, v35
	v_fma_f16 v70, v49, s17, v118
	v_mul_f16_e32 v126, 0x35c8, v134
	v_add_f16_e32 v36, v70, v36
	;; [unrolled: 20-line block ×5, first 2 shown]
	v_fma_f16 v33, v76, s11, -v135
	v_mul_f16_e32 v107, 0xb1e1, v102
	v_sub_f16_e32 v141, v2, v3
	v_add_f16_e32 v37, v33, v37
	v_fma_f16 v33, v54, s14, v107
	v_add_f16_e32 v81, v21, v31
	v_mul_f16_e32 v114, 0xb1e1, v141
	v_add_f16_e32 v33, v33, v16
	v_fma_f16 v16, v81, s14, -v114
	v_add_f16_e32 v34, v16, v125
	v_mul_f16_e32 v125, 0x35c8, v141
	v_fma_f16 v16, v81, s17, -v125
	v_add_f16_e32 v35, v16, v131
	v_mul_f16_e32 v131, 0xb836, v141
	v_fma_f16 v16, v81, s16, -v131
	v_mul_f16_e32 v138, 0x3964, v141
	v_add_f16_e32 v36, v16, v137
	v_fma_f16 v16, v81, s8, -v138
	v_mul_f16_e32 v137, 0x3964, v102
	v_add_f16_e32 v37, v16, v37
	v_fma_f16 v16, v54, s8, v137
	v_add_f16_e32 v16, v16, v142
	s_barrier
	s_and_saveexec_b64 s[4:5], vcc
	s_cbranch_execz .LBB0_7
; %bb.6:
	v_mul_f16_e32 v197, 0xb1e1, v121
	v_fma_f16 v198, v59, s14, v197
	v_mul_f16_e32 v199, 0x35c8, v122
	v_add_f16_sdwa v198, v198, v0 dst_sel:DWORD dst_unused:UNUSED_PAD src0_sel:DWORD src1_sel:WORD_1
	v_fma_f16 v200, v60, s17, v199
	v_add_f16_e32 v198, v200, v198
	v_mul_f16_e32 v200, 0xb836, v130
	v_fma_f16 v201, v64, s16, v200
	v_add_f16_e32 v198, v201, v198
	v_mul_f16_e32 v201, 0x3964, v134
	;; [unrolled: 3-line block ×7, first 2 shown]
	v_fma_f16 v207, v46, s14, -v206
	v_mul_f16_e32 v208, 0x35c8, v68
	v_add_f16_e32 v207, v207, v0
	v_fma_f16 v209, v47, s17, -v208
	v_add_f16_e32 v207, v209, v207
	v_mul_f16_e32 v209, 0xb836, v72
	v_fma_f16 v210, v48, s16, -v209
	v_add_f16_e32 v207, v210, v207
	v_mul_f16_e32 v210, 0x3964, v79
	;; [unrolled: 3-line block ×7, first 2 shown]
	v_fma_f16 v216, v59, s16, v215
	v_mul_f16_e32 v217, 0x3b29, v122
	v_add_f16_sdwa v216, v216, v0 dst_sel:DWORD dst_unused:UNUSED_PAD src0_sel:DWORD src1_sel:WORD_1
	v_fma_f16 v218, v60, s9, v217
	v_mul_f16_e32 v144, 0x39e9, v46
	v_add_f16_e32 v216, v218, v216
	v_mul_f16_e32 v218, 0xbbf7, v130
	v_mul_f16_e32 v152, 0x2de8, v47
	v_fma_f16 v219, v64, s10, v218
	v_sub_f16_e32 v53, v144, v53
	v_mul_f16_e32 v160, 0xb8d2, v48
	v_add_f16_e32 v216, v219, v216
	v_mul_f16_e32 v219, 0x3a62, v134
	v_add_f16_e32 v53, v53, v0
	v_sub_f16_e32 v55, v152, v55
	v_mul_f16_e32 v168, 0xbbdd, v49
	v_fma_f16 v220, v67, s11, v219
	v_add_f16_e32 v53, v55, v53
	v_sub_f16_e32 v55, v160, v57
	v_mul_f16_e32 v149, 0x2de8, v59
	v_mul_f16_e32 v176, 0xbacd, v50
	v_add_f16_e32 v216, v220, v216
	v_mul_f16_e32 v220, 0xb5c8, v136
	v_add_f16_e32 v53, v55, v53
	v_sub_f16_e32 v55, v168, v61
	v_mul_f16_e32 v157, 0xbbdd, v60
	v_mul_f16_e32 v184, 0xb461, v51
	v_fma_f16 v221, v70, s17, v220
	v_add_f16_e32 v115, v115, v149
	v_add_f16_e32 v53, v55, v53
	v_sub_f16_e32 v55, v176, v65
	v_mul_f16_e32 v192, 0x3722, v52
	v_add_f16_e32 v216, v221, v216
	v_mul_f16_e32 v221, 0xb1e1, v139
	v_add_f16_e32 v116, v116, v157
	v_add_f16_sdwa v115, v115, v0 dst_sel:DWORD dst_unused:UNUSED_PAD src0_sel:DWORD src1_sel:WORD_1
	v_add_f16_e32 v53, v55, v53
	v_sub_f16_e32 v55, v184, v69
	v_fma_f16 v222, v73, s14, v221
	v_add_f16_e32 v115, v116, v115
	v_mul_f16_e32 v116, 0x3b76, v54
	v_add_f16_e32 v53, v55, v53
	v_sub_f16_e32 v55, v192, v74
	v_mul_f16_e32 v143, 0x3b76, v59
	v_add_f16_e32 v216, v222, v216
	v_mul_f16_e32 v222, 0x3964, v140
	v_add_f16_e32 v53, v55, v53
	v_sub_f16_e32 v55, v116, v80
	v_mul_f16_e32 v146, 0x3722, v46
	v_mul_f16_e32 v151, 0x39e9, v60
	v_fma_f16 v223, v76, s8, v222
	v_add_f16_e32 v53, v55, v53
	v_add_f16_e32 v55, v83, v143
	v_mul_f16_e32 v154, 0xb8d2, v47
	v_mul_f16_e32 v159, 0x3722, v64
	v_add_f16_e32 v216, v223, v216
	v_mul_f16_e32 v223, 0xbbb2, v141
	v_sub_f16_e32 v56, v146, v56
	v_add_f16_sdwa v55, v55, v0 dst_sel:DWORD dst_unused:UNUSED_PAD src0_sel:DWORD src1_sel:WORD_1
	v_add_f16_e32 v57, v84, v151
	v_mul_f16_e32 v162, 0xbbdd, v48
	v_mul_f16_e32 v167, 0x2de8, v67
	v_fma_f16 v224, v81, s15, v223
	v_add_f16_e32 v56, v56, v0
	v_sub_f16_e32 v58, v154, v58
	v_add_f16_e32 v55, v57, v55
	v_add_f16_e32 v57, v89, v159
	v_mul_f16_e32 v170, 0xb461, v49
	v_mul_f16_e32 v175, 0xb461, v70
	v_add_f16_e32 v216, v224, v216
	v_mul_f16_e32 v224, 0xb836, v63
	v_add_f16_e32 v56, v58, v56
	v_sub_f16_e32 v58, v162, v62
	v_add_f16_e32 v55, v57, v55
	v_add_f16_e32 v57, v94, v167
	v_mul_f16_e32 v178, 0x39e9, v50
	v_mul_f16_e32 v183, 0xb8d2, v73
	v_fma_f16 v225, v46, s16, -v224
	v_mul_f16_e32 v226, 0x3b29, v68
	v_add_f16_e32 v56, v58, v56
	v_sub_f16_e32 v58, v170, v66
	v_add_f16_e32 v55, v57, v55
	v_add_f16_e32 v57, v98, v175
	v_mul_f16_e32 v165, 0xb461, v64
	v_mul_f16_e32 v186, 0x3b76, v51
	;; [unrolled: 1-line block ×3, first 2 shown]
	v_add_f16_e32 v225, v225, v0
	v_fma_f16 v227, v47, s9, -v226
	v_add_f16_e32 v56, v58, v56
	v_sub_f16_e32 v58, v178, v71
	v_add_f16_e32 v55, v57, v55
	v_add_f16_e32 v57, v104, v183
	v_mul_f16_e32 v194, 0x2de8, v52
	v_add_f16_e32 v225, v227, v225
	v_mul_f16_e32 v227, 0xbbf7, v72
	v_mul_f16_e32 v157, 0xbbdd, v81
	v_add_f16_e32 v120, v120, v165
	v_add_f16_e32 v56, v58, v56
	v_sub_f16_e32 v58, v186, v75
	v_add_f16_e32 v55, v57, v55
	v_add_f16_e32 v57, v110, v191
	v_mul_f16_e32 v142, 0x3b76, v46
	v_fma_f16 v228, v48, s10, -v227
	v_add_f16_e32 v115, v120, v115
	v_mul_f16_e32 v120, 0xbacd, v54
	v_add_f16_e32 v56, v58, v56
	v_sub_f16_e32 v58, v194, v82
	v_add_f16_e32 v55, v57, v55
	v_add_f16_e32 v57, v114, v157
	v_mul_f16_e32 v145, 0x39e9, v59
	v_mul_f16_e32 v150, 0x39e9, v47
	v_add_f16_e32 v225, v228, v225
	v_mul_f16_e32 v228, 0x3a62, v79
	v_add_f16_e32 v56, v58, v56
	v_sub_f16_e32 v58, v120, v87
	v_add_f16_e32 v55, v57, v55
	v_sub_f16_e32 v57, v142, v77
	v_mul_f16_e32 v153, 0x2de8, v60
	v_mul_f16_e32 v158, 0x3722, v48
	v_fma_f16 v229, v49, s11, -v228
	v_add_f16_e32 v56, v58, v56
	v_add_f16_e32 v58, v91, v145
	;; [unrolled: 1-line block ×3, first 2 shown]
	v_sub_f16_e32 v61, v150, v78
	v_mul_f16_e32 v161, 0xb8d2, v64
	v_mul_f16_e32 v166, 0x2de8, v49
	v_add_f16_e32 v225, v229, v225
	v_mul_f16_e32 v229, 0xb5c8, v86
	v_add_f16_sdwa v58, v58, v0 dst_sel:DWORD dst_unused:UNUSED_PAD src0_sel:DWORD src1_sel:WORD_1
	v_add_f16_e32 v62, v92, v153
	v_add_f16_e32 v57, v61, v57
	v_sub_f16_e32 v61, v158, v85
	v_mul_f16_e32 v169, 0xbbdd, v67
	v_mul_f16_e32 v174, 0xb461, v50
	v_fma_f16 v230, v50, s17, -v229
	v_add_f16_e32 v58, v62, v58
	v_add_f16_e32 v62, v97, v161
	;; [unrolled: 1-line block ×3, first 2 shown]
	v_sub_f16_e32 v61, v166, v88
	v_mul_f16_e32 v177, 0xbacd, v70
	v_mul_f16_e32 v182, 0xb8d2, v51
	v_add_f16_e32 v225, v230, v225
	v_mul_f16_e32 v230, 0xb1e1, v90
	v_add_f16_e32 v58, v62, v58
	v_add_f16_e32 v62, v103, v169
	;; [unrolled: 1-line block ×3, first 2 shown]
	v_sub_f16_e32 v61, v174, v93
	v_mul_f16_e32 v185, 0xb461, v73
	v_mul_f16_e32 v190, 0xbacd, v52
	v_fma_f16 v231, v51, s14, -v230
	v_add_f16_e32 v58, v62, v58
	v_add_f16_e32 v62, v109, v177
	;; [unrolled: 1-line block ×3, first 2 shown]
	v_sub_f16_e32 v61, v182, v96
	v_mul_f16_e32 v193, 0x3722, v76
	v_add_f16_e32 v225, v231, v225
	v_mul_f16_e32 v231, 0x3964, v95
	v_mul_f16_e32 v149, 0xbbdd, v54
	v_add_f16_e32 v58, v62, v58
	v_add_f16_e32 v62, v113, v185
	;; [unrolled: 1-line block ×3, first 2 shown]
	v_sub_f16_e32 v61, v190, v101
	v_fma_f16 v232, v52, s8, -v231
	v_mul_f16_e32 v165, 0x3b76, v81
	v_add_f16_e32 v58, v62, v58
	v_add_f16_e32 v62, v119, v193
	;; [unrolled: 1-line block ×3, first 2 shown]
	v_sub_f16_e32 v61, v149, v107
	v_add_f16_e32 v225, v232, v225
	v_mul_f16_e32 v232, 0xbbb2, v102
	v_add_f16_e32 v58, v62, v58
	v_add_f16_e32 v62, v125, v165
	;; [unrolled: 1-line block ×3, first 2 shown]
	v_fma_f16 v61, v59, s14, -v197
	v_fma_f16 v233, v54, s15, -v232
	v_add_f16_e32 v58, v62, v58
	v_add_f16_sdwa v61, v61, v0 dst_sel:DWORD dst_unused:UNUSED_PAD src0_sel:DWORD src1_sel:WORD_1
	v_fma_f16 v62, v60, s17, -v199
	v_add_f16_e32 v225, v233, v225
	v_mul_f16_e32 v233, 0xba62, v121
	v_add_f16_e32 v61, v62, v61
	v_fma_f16 v62, v64, s16, -v200
	v_fma_f16 v234, v59, s11, v233
	v_mul_f16_e32 v235, 0x3bb2, v122
	v_add_f16_e32 v61, v62, v61
	v_fma_f16 v62, v67, s8, -v201
	v_add_f16_sdwa v234, v234, v0 dst_sel:DWORD dst_unused:UNUSED_PAD src0_sel:DWORD src1_sel:WORD_1
	v_fma_f16 v236, v60, s15, v235
	v_add_f16_e32 v61, v62, v61
	v_fma_f16 v62, v70, s11, -v202
	v_add_f16_e32 v234, v236, v234
	v_mul_f16_e32 v236, 0xb5c8, v130
	v_add_f16_e32 v61, v62, v61
	v_fma_f16 v62, v73, s9, -v203
	v_fma_f16 v237, v64, s17, v236
	v_add_f16_e32 v61, v62, v61
	v_fma_f16 v62, v76, s15, -v204
	v_add_f16_e32 v234, v237, v234
	v_mul_f16_e32 v237, 0xb836, v134
	v_add_f16_e32 v61, v62, v61
	v_fma_f16 v62, v81, s10, -v205
	v_fma_f16 v238, v67, s16, v237
	v_add_f16_e32 v61, v62, v61
	v_fma_f16 v62, v46, s14, v206
	v_add_f16_e32 v234, v238, v234
	v_mul_f16_e32 v238, 0x3bf7, v136
	v_add_f16_e32 v62, v62, v0
	v_fma_f16 v65, v47, s17, v208
	v_fma_f16 v239, v70, s10, v238
	v_add_f16_e32 v62, v65, v62
	v_fma_f16 v65, v48, s16, v209
	v_add_f16_e32 v234, v239, v234
	v_mul_f16_e32 v239, 0xb964, v139
	v_add_f16_e32 v62, v65, v62
	v_fma_f16 v65, v49, s8, v210
	v_fma_f16 v240, v73, s8, v239
	v_add_f16_e32 v62, v65, v62
	v_fma_f16 v65, v50, s11, v211
	v_add_f16_e32 v234, v240, v234
	v_mul_f16_e32 v240, 0xb1e1, v140
	v_add_f16_e32 v62, v65, v62
	v_fma_f16 v65, v51, s9, v212
	v_fma_f16 v241, v76, s14, v240
	v_add_f16_e32 v62, v65, v62
	v_fma_f16 v65, v52, s15, v213
	v_add_f16_e32 v234, v241, v234
	v_mul_f16_e32 v241, 0x3b29, v141
	v_add_f16_e32 v62, v65, v62
	v_fma_f16 v65, v54, s10, v214
	v_fma_f16 v242, v81, s9, v241
	v_add_f16_e32 v62, v65, v62
	v_fma_f16 v65, v59, s16, -v215
	v_add_f16_e32 v234, v242, v234
	v_mul_f16_e32 v242, 0xba62, v63
	v_add_f16_sdwa v65, v65, v0 dst_sel:DWORD dst_unused:UNUSED_PAD src0_sel:DWORD src1_sel:WORD_1
	v_fma_f16 v66, v60, s9, -v217
	v_fma_f16 v243, v46, s11, -v242
	v_mul_f16_e32 v244, 0x3bb2, v68
	v_add_f16_e32 v65, v66, v65
	v_fma_f16 v66, v64, s10, -v218
	v_add_f16_e32 v243, v243, v0
	v_fma_f16 v245, v47, s15, -v244
	;; [unrolled: 2-line block ×3, first 2 shown]
	v_add_f16_e32 v243, v245, v243
	v_mul_f16_e32 v245, 0xb5c8, v72
	v_add_f16_e32 v65, v66, v65
	v_fma_f16 v66, v70, s17, -v220
	v_fma_f16 v246, v48, s17, -v245
	v_add_f16_e32 v65, v66, v65
	v_fma_f16 v66, v73, s14, -v221
	v_add_f16_e32 v243, v246, v243
	v_mul_f16_e32 v246, 0xb836, v79
	v_add_f16_e32 v65, v66, v65
	v_fma_f16 v66, v76, s8, -v222
	v_fma_f16 v247, v49, s16, -v246
	v_add_f16_e32 v65, v66, v65
	v_fma_f16 v66, v81, s15, -v223
	v_add_f16_e32 v243, v247, v243
	v_mul_f16_e32 v247, 0x3bf7, v86
	v_add_f16_e32 v65, v66, v65
	v_fma_f16 v66, v46, s16, v224
	v_fma_f16 v248, v50, s10, -v247
	v_add_f16_e32 v66, v66, v0
	v_fma_f16 v69, v47, s9, v226
	v_add_f16_e32 v243, v248, v243
	v_mul_f16_e32 v248, 0xb964, v90
	v_add_f16_e32 v66, v69, v66
	v_fma_f16 v69, v48, s10, v227
	v_fma_f16 v249, v51, s8, -v248
	v_add_f16_e32 v66, v69, v66
	v_fma_f16 v69, v49, s11, v228
	v_add_f16_e32 v243, v249, v243
	v_mul_f16_e32 v249, 0xb1e1, v95
	v_add_f16_e32 v66, v69, v66
	v_fma_f16 v69, v50, s17, v229
	v_fma_f16 v250, v52, s14, -v249
	v_add_f16_e32 v66, v69, v66
	v_fma_f16 v69, v51, s14, v230
	v_add_f16_e32 v243, v250, v243
	v_mul_f16_e32 v250, 0x3b29, v102
	v_add_f16_e32 v66, v69, v66
	v_fma_f16 v69, v52, s8, v231
	v_fma_f16 v251, v54, s9, -v250
	v_mul_f16_e32 v121, 0xbbb2, v121
	v_add_f16_e32 v66, v69, v66
	v_fma_f16 v69, v54, s15, v232
	v_add_f16_e32 v243, v251, v243
	v_fma_f16 v251, v59, s15, v121
	v_mul_f16_e32 v122, 0x3836, v122
	v_add_f16_e32 v66, v69, v66
	v_fma_f16 v69, v59, s11, -v233
	v_add_f16_sdwa v251, v251, v0 dst_sel:DWORD dst_unused:UNUSED_PAD src0_sel:DWORD src1_sel:WORD_1
	v_fma_f16 v252, v60, s16, v122
	v_mul_f16_e32 v130, 0x3964, v130
	v_add_f16_sdwa v69, v69, v0 dst_sel:DWORD dst_unused:UNUSED_PAD src0_sel:DWORD src1_sel:WORD_1
	v_fma_f16 v71, v60, s15, -v235
	v_add_f16_e32 v251, v252, v251
	v_fma_f16 v252, v64, s8, v130
	v_mul_f16_e32 v134, 0xbb29, v134
	v_add_f16_e32 v69, v71, v69
	v_fma_f16 v71, v64, s17, -v236
	v_add_f16_e32 v251, v252, v251
	v_fma_f16 v252, v67, s9, v134
	v_mul_f16_e32 v136, 0xb1e1, v136
	v_add_f16_e32 v69, v71, v69
	;; [unrolled: 5-line block ×5, first 2 shown]
	v_fma_f16 v71, v76, s14, -v240
	v_mul_f16_e32 v147, 0x3722, v59
	v_mul_f16_e32 v148, 0x2de8, v46
	v_add_f16_e32 v251, v252, v251
	v_fma_f16 v252, v81, s11, v141
	v_mul_f16_e32 v63, 0xbbb2, v63
	v_add_f16_e32 v69, v71, v69
	v_fma_f16 v71, v81, s9, -v241
	v_add_f16_e32 v251, v252, v251
	v_fma_f16 v252, v46, s15, -v63
	v_sub_f16_e32 v105, v148, v105
	v_add_f16_e32 v99, v99, v147
	v_add_f16_e32 v69, v71, v69
	v_fma_f16 v71, v46, s11, v242
	v_fma_f16 v59, v59, s15, -v121
	v_fma_f16 v46, v46, s15, v63
	v_add_f16_e32 v252, v252, v0
	v_add_f16_e32 v105, v105, v0
	v_add_f16_sdwa v99, v99, v0 dst_sel:DWORD dst_unused:UNUSED_PAD src0_sel:DWORD src1_sel:WORD_1
	v_add_f16_e32 v71, v71, v0
	v_add_f16_sdwa v59, v59, v0 dst_sel:DWORD dst_unused:UNUSED_PAD src0_sel:DWORD src1_sel:WORD_1
	;; [unrolled: 2-line block ×3, first 2 shown]
	v_add_f16_e32 v0, v1, v0
	v_add_f16_e32 v27, v27, v38
	v_add_f16_e32 v0, v4, v0
	v_add_f16_e32 v24, v24, v27
	v_add_f16_e32 v0, v5, v0
	v_add_f16_e32 v23, v23, v24
	v_add_f16_e32 v0, v6, v0
	v_add_f16_e32 v23, v28, v23
	v_add_f16_e32 v0, v7, v0
	v_add_f16_e32 v23, v26, v23
	v_add_f16_e32 v0, v8, v0
	v_mul_f16_e32 v68, 0x3836, v68
	v_add_f16_e32 v23, v40, v23
	v_add_f16_e32 v0, v9, v0
	v_fma_f16 v253, v47, s16, -v68
	v_mul_f16_e32 v72, 0x3964, v72
	v_add_f16_e32 v23, v31, v23
	v_add_f16_e32 v0, v2, v0
	;; [unrolled: 1-line block ×3, first 2 shown]
	v_fma_f16 v253, v48, s8, -v72
	v_mul_f16_e32 v79, 0xbb29, v79
	v_add_f16_e32 v21, v21, v23
	v_add_f16_e32 v0, v3, v0
	v_mul_f16_e32 v155, 0xb8d2, v60
	v_mul_f16_e32 v156, 0xbbdd, v47
	v_add_f16_e32 v252, v253, v252
	v_fma_f16 v253, v49, s9, -v79
	v_mul_f16_e32 v86, 0xb1e1, v86
	v_add_f16_e32 v21, v22, v21
	v_add_f16_e32 v0, v10, v0
	v_mul_f16_e32 v163, 0xbbdd, v64
	v_mul_f16_e32 v164, 0xb461, v48
	v_add_f16_e32 v252, v253, v252
	v_fma_f16 v253, v50, s14, -v86
	v_mul_f16_e32 v90, 0x3bf7, v90
	v_sub_f16_e32 v106, v156, v106
	v_add_f16_e32 v100, v100, v155
	v_add_f16_e32 v21, v39, v21
	;; [unrolled: 1-line block ×3, first 2 shown]
	v_mul_f16_e32 v171, 0xb461, v67
	v_mul_f16_e32 v172, 0x3b76, v49
	;; [unrolled: 1-line block ×3, first 2 shown]
	v_add_f16_e32 v252, v253, v252
	v_fma_f16 v253, v51, s10, -v90
	v_mul_f16_e32 v95, 0xb5c8, v95
	v_add_f16_e32 v105, v106, v105
	v_sub_f16_e32 v106, v164, v112
	v_add_f16_e32 v99, v100, v99
	v_add_f16_e32 v100, v108, v163
	;; [unrolled: 1-line block ×4, first 2 shown]
	v_mul_f16_e32 v179, 0x39e9, v70
	v_mul_f16_e32 v180, 0x3722, v50
	;; [unrolled: 1-line block ×3, first 2 shown]
	v_add_f16_e32 v252, v253, v252
	v_fma_f16 v253, v52, s17, -v95
	v_mul_f16_e32 v102, 0xba62, v102
	v_add_f16_e32 v126, v126, v173
	v_add_f16_e32 v105, v106, v105
	v_sub_f16_e32 v106, v172, v118
	v_add_f16_e32 v99, v100, v99
	v_add_f16_e32 v100, v111, v171
	v_add_f16_e32 v21, v42, v21
	v_add_f16_e32 v0, v18, v0
	v_mul_f16_e32 v187, 0x3b76, v73
	v_mul_f16_e32 v188, 0xbacd, v51
	v_mul_f16_e32 v189, 0xbacd, v73
	v_add_f16_e32 v252, v253, v252
	v_fma_f16 v253, v54, s11, -v102
	v_add_f16_e32 v115, v126, v115
	v_add_f16_e32 v129, v129, v181
	;; [unrolled: 1-line block ×3, first 2 shown]
	v_sub_f16_e32 v106, v180, v124
	v_add_f16_e32 v99, v100, v99
	v_add_f16_e32 v100, v117, v179
	;; [unrolled: 1-line block ×4, first 2 shown]
	v_mul_f16_e32 v195, 0x2de8, v76
	v_mul_f16_e32 v196, 0xb8d2, v52
	v_add_f16_e32 v252, v253, v252
	v_mul_f16_e32 v253, 0xb8d2, v76
	v_add_f16_e32 v115, v129, v115
	v_add_f16_e32 v129, v133, v189
	;; [unrolled: 1-line block ×3, first 2 shown]
	v_sub_f16_e32 v106, v188, v128
	v_add_f16_e32 v99, v100, v99
	v_add_f16_e32 v100, v123, v187
	v_fma_f16 v74, v47, s15, v244
	v_fma_f16 v60, v60, s16, -v122
	v_fma_f16 v47, v47, s16, v68
	v_add_f16_e32 v21, v44, v21
	v_add_f16_e32 v0, v20, v0
	v_mul_f16_e32 v173, 0xbacd, v81
	v_mul_f16_e32 v126, 0x39e9, v54
	;; [unrolled: 1-line block ×3, first 2 shown]
	v_add_f16_e32 v115, v129, v115
	v_add_f16_e32 v129, v135, v253
	;; [unrolled: 1-line block ×3, first 2 shown]
	v_sub_f16_e32 v106, v196, v132
	v_add_f16_e32 v99, v100, v99
	v_add_f16_e32 v100, v127, v195
	;; [unrolled: 1-line block ×3, first 2 shown]
	v_fma_f16 v74, v48, s17, v245
	v_add_f16_e32 v59, v60, v59
	v_fma_f16 v60, v64, s8, -v130
	v_add_f16_e32 v46, v47, v46
	v_fma_f16 v47, v48, s8, v72
	v_add_f16_sdwa v21, v45, v21 dst_sel:WORD_1 dst_unused:UNUSED_PAD src0_sel:DWORD src1_sel:DWORD
	v_add_f16_e32 v0, v25, v0
	v_mul_lo_u16_e32 v1, 17, v29
	v_add_f16_e32 v115, v129, v115
	v_add_f16_e32 v129, v138, v181
	;; [unrolled: 1-line block ×3, first 2 shown]
	v_sub_f16_e32 v106, v126, v137
	v_add_f16_e32 v99, v100, v99
	v_add_f16_e32 v100, v131, v173
	;; [unrolled: 1-line block ×3, first 2 shown]
	v_fma_f16 v74, v49, s16, v246
	v_add_f16_e32 v59, v60, v59
	v_fma_f16 v60, v67, s9, -v134
	v_add_f16_e32 v46, v47, v46
	v_fma_f16 v47, v49, s9, v79
	v_or_b32_e32 v0, v21, v0
	v_add_lshl_u32 v1, v15, v1, 2
	v_add_f16_e32 v115, v129, v115
	v_add_f16_e32 v105, v106, v105
	;; [unrolled: 1-line block ×4, first 2 shown]
	v_fma_f16 v74, v50, s10, v247
	v_add_f16_e32 v59, v60, v59
	v_fma_f16 v60, v70, s14, -v136
	v_add_f16_e32 v46, v47, v46
	v_fma_f16 v47, v50, s14, v86
	ds_write_b32 v1, v0
	v_pack_b32_f16 v0, v53, v58
	v_pack_b32_f16 v2, v57, v55
	v_add_f16_e32 v71, v74, v71
	v_fma_f16 v74, v51, s8, v248
	v_add_f16_e32 v59, v60, v59
	v_fma_f16 v60, v73, s10, -v139
	v_add_f16_e32 v46, v47, v46
	v_fma_f16 v47, v51, s10, v90
	ds_write2_b32 v1, v2, v0 offset0:1 offset1:2
	v_pack_b32_f16 v0, v105, v115
	v_pack_b32_f16 v2, v56, v99
	v_add_f16_e32 v71, v74, v71
	v_fma_f16 v74, v52, s14, v249
	v_add_f16_e32 v59, v60, v59
	v_fma_f16 v60, v76, s17, -v140
	v_add_f16_e32 v46, v47, v46
	v_fma_f16 v47, v52, s17, v95
	ds_write2_b32 v1, v2, v0 offset0:3 offset1:4
	;; [unrolled: 9-line block ×3, first 2 shown]
	v_pack_b32_f16 v0, v207, v198
	v_pack_b32_f16 v2, v225, v216
	v_add_f16_e32 v71, v74, v71
	v_add_f16_e32 v59, v60, v59
	;; [unrolled: 1-line block ×3, first 2 shown]
	ds_write2_b32 v1, v2, v0 offset0:7 offset1:8
	v_pack_b32_f16 v0, v66, v65
	v_pack_b32_f16 v2, v62, v61
	ds_write2_b32 v1, v2, v0 offset0:9 offset1:10
	v_pack_b32_f16 v0, v46, v59
	v_pack_b32_f16 v2, v71, v69
	s_mov_b32 s8, 0x5040100
	ds_write2_b32 v1, v2, v0 offset0:11 offset1:12
	v_perm_b32 v0, v36, v13, s8
	v_perm_b32 v2, v37, v16, s8
	ds_write2_b32 v1, v2, v0 offset0:13 offset1:14
	v_perm_b32 v0, v34, v33, s8
	v_perm_b32 v2, v35, v14, s8
	ds_write2_b32 v1, v2, v0 offset0:15 offset1:16
.LBB0_7:
	s_or_b64 exec, exec, s[4:5]
	v_mul_u32_u24_e32 v0, 12, v29
	v_lshlrev_b32_e32 v17, 2, v0
	s_load_dwordx4 s[8:11], s[2:3], 0x0
	s_waitcnt lgkmcnt(0)
	s_barrier
	global_load_dwordx4 v[0:3], v17, s[0:1]
	global_load_dwordx4 v[4:7], v17, s[0:1] offset:16
	global_load_dwordx4 v[8:11], v17, s[0:1] offset:32
	v_add_lshl_u32 v38, v15, v29, 2
	ds_read2_b32 v[18:19], v38 offset1:17
	ds_read2_b32 v[20:21], v38 offset0:34 offset1:51
	ds_read2_b32 v[22:23], v38 offset0:68 offset1:85
	;; [unrolled: 1-line block ×5, first 2 shown]
	ds_read_b32 v15, v38 offset:816
	s_waitcnt lgkmcnt(6)
	v_lshrrev_b32_e32 v17, 16, v19
	s_waitcnt lgkmcnt(5)
	v_lshrrev_b32_e32 v28, 16, v20
	v_lshrrev_b32_e32 v31, 16, v21
	s_waitcnt lgkmcnt(4)
	v_lshrrev_b32_e32 v41, 16, v22
	;; [unrolled: 3-line block ×6, first 2 shown]
	s_movk_i32 s2, 0x3b15
	s_movk_i32 s1, 0x388b
	;; [unrolled: 1-line block ×3, first 2 shown]
	s_mov_b32 s3, 0xb5ac
	s_mov_b32 s4, 0xb9fd
	;; [unrolled: 1-line block ×3, first 2 shown]
	s_waitcnt vmcnt(2)
	v_mul_f16_sdwa v50, v17, v0 dst_sel:DWORD dst_unused:UNUSED_PAD src0_sel:DWORD src1_sel:WORD_1
	v_mul_f16_sdwa v51, v19, v0 dst_sel:DWORD dst_unused:UNUSED_PAD src0_sel:DWORD src1_sel:WORD_1
	v_mul_f16_sdwa v52, v28, v1 dst_sel:DWORD dst_unused:UNUSED_PAD src0_sel:DWORD src1_sel:WORD_1
	v_mul_f16_sdwa v53, v20, v1 dst_sel:DWORD dst_unused:UNUSED_PAD src0_sel:DWORD src1_sel:WORD_1
	v_fma_f16 v19, v19, v0, -v50
	v_fma_f16 v50, v17, v0, v51
	v_mul_f16_sdwa v54, v31, v2 dst_sel:DWORD dst_unused:UNUSED_PAD src0_sel:DWORD src1_sel:WORD_1
	v_mul_f16_sdwa v55, v21, v2 dst_sel:DWORD dst_unused:UNUSED_PAD src0_sel:DWORD src1_sel:WORD_1
	v_fma_f16 v20, v20, v1, -v52
	v_fma_f16 v28, v28, v1, v53
	v_add_f16_e32 v17, v19, v18
	v_add_f16_sdwa v51, v50, v18 dst_sel:DWORD dst_unused:UNUSED_PAD src0_sel:DWORD src1_sel:WORD_1
	v_mul_f16_sdwa v56, v41, v3 dst_sel:DWORD dst_unused:UNUSED_PAD src0_sel:DWORD src1_sel:WORD_1
	v_mul_f16_sdwa v57, v22, v3 dst_sel:DWORD dst_unused:UNUSED_PAD src0_sel:DWORD src1_sel:WORD_1
	v_fma_f16 v21, v21, v2, -v54
	v_fma_f16 v31, v31, v2, v55
	v_add_f16_e32 v17, v17, v20
	v_add_f16_e32 v51, v51, v28
	s_waitcnt vmcnt(1)
	v_mul_f16_sdwa v58, v42, v4 dst_sel:DWORD dst_unused:UNUSED_PAD src0_sel:DWORD src1_sel:WORD_1
	v_mul_f16_sdwa v59, v23, v4 dst_sel:DWORD dst_unused:UNUSED_PAD src0_sel:DWORD src1_sel:WORD_1
	v_fma_f16 v22, v22, v3, -v56
	v_fma_f16 v41, v41, v3, v57
	v_add_f16_e32 v17, v17, v21
	v_add_f16_e32 v51, v51, v31
	v_mul_f16_sdwa v60, v43, v5 dst_sel:DWORD dst_unused:UNUSED_PAD src0_sel:DWORD src1_sel:WORD_1
	v_mul_f16_sdwa v61, v24, v5 dst_sel:DWORD dst_unused:UNUSED_PAD src0_sel:DWORD src1_sel:WORD_1
	v_fma_f16 v23, v23, v4, -v58
	v_fma_f16 v42, v42, v4, v59
	v_add_f16_e32 v17, v17, v22
	v_add_f16_e32 v51, v51, v41
	v_mul_f16_sdwa v62, v44, v6 dst_sel:DWORD dst_unused:UNUSED_PAD src0_sel:DWORD src1_sel:WORD_1
	v_mul_f16_sdwa v63, v25, v6 dst_sel:DWORD dst_unused:UNUSED_PAD src0_sel:DWORD src1_sel:WORD_1
	v_fma_f16 v24, v24, v5, -v60
	v_fma_f16 v43, v43, v5, v61
	v_add_f16_e32 v17, v17, v23
	v_add_f16_e32 v51, v51, v42
	v_mul_f16_sdwa v64, v45, v7 dst_sel:DWORD dst_unused:UNUSED_PAD src0_sel:DWORD src1_sel:WORD_1
	v_mul_f16_sdwa v65, v26, v7 dst_sel:DWORD dst_unused:UNUSED_PAD src0_sel:DWORD src1_sel:WORD_1
	v_fma_f16 v25, v25, v6, -v62
	v_fma_f16 v44, v44, v6, v63
	v_add_f16_e32 v17, v17, v24
	v_add_f16_e32 v51, v51, v43
	s_waitcnt vmcnt(0)
	v_mul_f16_sdwa v66, v46, v8 dst_sel:DWORD dst_unused:UNUSED_PAD src0_sel:DWORD src1_sel:WORD_1
	v_mul_f16_sdwa v67, v27, v8 dst_sel:DWORD dst_unused:UNUSED_PAD src0_sel:DWORD src1_sel:WORD_1
	v_fma_f16 v26, v26, v7, -v64
	v_fma_f16 v45, v45, v7, v65
	v_add_f16_e32 v17, v17, v25
	v_add_f16_e32 v51, v51, v44
	v_mul_f16_sdwa v68, v47, v9 dst_sel:DWORD dst_unused:UNUSED_PAD src0_sel:DWORD src1_sel:WORD_1
	v_mul_f16_sdwa v69, v39, v9 dst_sel:DWORD dst_unused:UNUSED_PAD src0_sel:DWORD src1_sel:WORD_1
	v_fma_f16 v27, v27, v8, -v66
	v_fma_f16 v46, v46, v8, v67
	v_add_f16_e32 v17, v17, v26
	v_add_f16_e32 v51, v51, v45
	;; [unrolled: 6-line block ×4, first 2 shown]
	v_fma_f16 v15, v15, v11, -v72
	v_fma_f16 v49, v49, v11, v73
	v_add_f16_e32 v17, v17, v40
	v_add_f16_e32 v51, v51, v48
	;; [unrolled: 1-line block ×3, first 2 shown]
	v_add_f16_sdwa v51, v51, v49 dst_sel:WORD_1 dst_unused:UNUSED_PAD src0_sel:DWORD src1_sel:DWORD
	v_or_b32_e32 v17, v51, v17
	v_add_f16_e32 v51, v19, v15
	v_sub_f16_e32 v15, v19, v15
	v_sub_f16_e32 v19, v50, v49
	v_add_f16_e32 v52, v50, v49
	v_mul_f16_e32 v49, 0xb770, v19
	v_mul_f16_e32 v53, 0xb770, v15
	v_mul_f16_e32 v55, 0xba95, v19
	v_mul_f16_e32 v57, 0xba95, v15
	v_mul_f16_e32 v59, 0xbbf1, v19
	v_mul_f16_e32 v61, 0xbbf1, v15
	v_mul_f16_e32 v63, 0xbb7b, v19
	v_mul_f16_e32 v65, 0xbb7b, v15
	v_mul_f16_e32 v67, 0xb94e, v19
	v_mul_f16_e32 v69, 0xb94e, v15
	v_mul_f16_e32 v19, 0xb3a8, v19
	v_mul_f16_e32 v15, 0xb3a8, v15
	v_fma_f16 v50, v51, s2, -v49
	v_fma_f16 v54, v52, s2, v53
	v_fma_f16 v49, v51, s2, v49
	v_fma_f16 v53, v52, s2, -v53
	v_fma_f16 v56, v51, s1, -v55
	v_fma_f16 v58, v52, s1, v57
	v_fma_f16 v55, v51, s1, v55
	v_fma_f16 v57, v52, s1, -v57
	;; [unrolled: 4-line block ×6, first 2 shown]
	v_add_f16_e32 v51, v28, v48
	v_sub_f16_e32 v28, v28, v48
	v_add_f16_e32 v50, v50, v18
	v_add_f16_sdwa v54, v54, v18 dst_sel:DWORD dst_unused:UNUSED_PAD src0_sel:DWORD src1_sel:WORD_1
	v_add_f16_e32 v49, v49, v18
	v_add_f16_sdwa v53, v53, v18 dst_sel:DWORD dst_unused:UNUSED_PAD src0_sel:DWORD src1_sel:WORD_1
	v_add_f16_e32 v56, v56, v18
	v_add_f16_sdwa v58, v58, v18 dst_sel:DWORD dst_unused:UNUSED_PAD src0_sel:DWORD src1_sel:WORD_1
	v_add_f16_e32 v55, v55, v18
	v_add_f16_sdwa v57, v57, v18 dst_sel:DWORD dst_unused:UNUSED_PAD src0_sel:DWORD src1_sel:WORD_1
	v_add_f16_e32 v60, v60, v18
	v_add_f16_sdwa v62, v62, v18 dst_sel:DWORD dst_unused:UNUSED_PAD src0_sel:DWORD src1_sel:WORD_1
	v_add_f16_e32 v59, v59, v18
	v_add_f16_sdwa v61, v61, v18 dst_sel:DWORD dst_unused:UNUSED_PAD src0_sel:DWORD src1_sel:WORD_1
	v_add_f16_e32 v64, v64, v18
	v_add_f16_sdwa v66, v66, v18 dst_sel:DWORD dst_unused:UNUSED_PAD src0_sel:DWORD src1_sel:WORD_1
	v_add_f16_e32 v63, v63, v18
	v_add_f16_sdwa v65, v65, v18 dst_sel:DWORD dst_unused:UNUSED_PAD src0_sel:DWORD src1_sel:WORD_1
	v_add_f16_e32 v68, v68, v18
	v_add_f16_sdwa v70, v70, v18 dst_sel:DWORD dst_unused:UNUSED_PAD src0_sel:DWORD src1_sel:WORD_1
	v_add_f16_e32 v67, v67, v18
	v_add_f16_sdwa v69, v69, v18 dst_sel:DWORD dst_unused:UNUSED_PAD src0_sel:DWORD src1_sel:WORD_1
	v_add_f16_e32 v71, v71, v18
	v_add_f16_sdwa v72, v72, v18 dst_sel:DWORD dst_unused:UNUSED_PAD src0_sel:DWORD src1_sel:WORD_1
	v_add_f16_e32 v19, v19, v18
	v_add_f16_sdwa v15, v15, v18 dst_sel:DWORD dst_unused:UNUSED_PAD src0_sel:DWORD src1_sel:WORD_1
	v_add_f16_e32 v18, v20, v40
	v_sub_f16_e32 v20, v20, v40
	v_mul_f16_e32 v40, 0xba95, v28
	v_fma_f16 v48, v18, s1, -v40
	v_add_f16_e32 v48, v48, v50
	v_mul_f16_e32 v50, 0xba95, v20
	v_fma_f16 v40, v18, s1, v40
	v_fma_f16 v52, v51, s1, v50
	v_add_f16_e32 v40, v40, v49
	v_fma_f16 v49, v51, s1, -v50
	v_mul_f16_e32 v50, 0xbb7b, v28
	v_add_f16_e32 v52, v52, v54
	v_add_f16_e32 v49, v49, v53
	v_fma_f16 v53, v18, s3, -v50
	v_mul_f16_e32 v54, 0xbb7b, v20
	v_fma_f16 v50, v18, s3, v50
	v_add_f16_e32 v53, v53, v56
	v_fma_f16 v56, v51, s3, v54
	v_add_f16_e32 v50, v50, v55
	v_fma_f16 v54, v51, s3, -v54
	v_mul_f16_e32 v55, 0xb3a8, v28
	v_add_f16_e32 v56, v56, v58
	v_add_f16_e32 v54, v54, v57
	v_fma_f16 v57, v18, s5, -v55
	v_mul_f16_e32 v58, 0xb3a8, v20
	v_fma_f16 v55, v18, s5, v55
	v_add_f16_e32 v57, v57, v60
	;; [unrolled: 10-line block ×3, first 2 shown]
	v_fma_f16 v64, v51, s4, v62
	v_add_f16_e32 v59, v59, v63
	v_fma_f16 v62, v51, s4, -v62
	v_mul_f16_e32 v63, 0x3bf1, v28
	v_add_f16_e32 v62, v62, v65
	v_fma_f16 v65, v18, s0, -v63
	v_fma_f16 v63, v18, s0, v63
	v_mul_f16_e32 v28, 0x3770, v28
	v_add_f16_e32 v64, v64, v66
	v_mul_f16_e32 v66, 0x3bf1, v20
	v_add_f16_e32 v63, v63, v67
	v_fma_f16 v67, v18, s2, -v28
	v_mul_f16_e32 v20, 0x3770, v20
	v_fma_f16 v18, v18, s2, v28
	v_add_f16_e32 v65, v65, v68
	v_fma_f16 v68, v51, s0, v66
	v_fma_f16 v66, v51, s0, -v66
	v_add_f16_e32 v18, v18, v19
	v_fma_f16 v19, v51, s2, -v20
	v_sub_f16_e32 v28, v31, v47
	v_add_f16_e32 v66, v66, v69
	v_fma_f16 v69, v51, s2, v20
	v_add_f16_e32 v15, v19, v15
	v_add_f16_e32 v19, v21, v39
	;; [unrolled: 1-line block ×3, first 2 shown]
	v_sub_f16_e32 v21, v21, v39
	v_mul_f16_e32 v31, 0xbbf1, v28
	v_fma_f16 v39, v19, s0, -v31
	v_mul_f16_e32 v47, 0xbbf1, v21
	v_fma_f16 v31, v19, s0, v31
	v_add_f16_e32 v39, v39, v48
	v_fma_f16 v48, v20, s0, v47
	v_add_f16_e32 v31, v31, v40
	v_fma_f16 v40, v20, s0, -v47
	v_mul_f16_e32 v47, 0xb3a8, v28
	v_add_f16_e32 v40, v40, v49
	v_fma_f16 v49, v19, s5, -v47
	v_mul_f16_e32 v51, 0xb3a8, v21
	v_fma_f16 v47, v19, s5, v47
	v_add_f16_e32 v48, v48, v52
	v_fma_f16 v52, v20, s5, v51
	v_add_f16_e32 v47, v47, v50
	v_fma_f16 v50, v20, s5, -v51
	v_mul_f16_e32 v51, 0x3b7b, v28
	v_add_f16_e32 v49, v49, v53
	v_fma_f16 v53, v19, s3, -v51
	v_fma_f16 v51, v19, s3, v51
	v_add_f16_e32 v50, v50, v54
	v_mul_f16_e32 v54, 0x3b7b, v21
	v_add_f16_e32 v51, v51, v55
	v_mul_f16_e32 v55, 0x3770, v28
	v_add_f16_e32 v52, v52, v56
	v_add_f16_e32 v53, v53, v57
	v_fma_f16 v56, v20, s3, v54
	v_fma_f16 v54, v20, s3, -v54
	v_fma_f16 v57, v19, s2, -v55
	v_fma_f16 v55, v19, s2, v55
	v_add_f16_e32 v54, v54, v58
	v_mul_f16_e32 v58, 0x3770, v21
	v_add_f16_e32 v55, v55, v59
	v_mul_f16_e32 v59, 0xba95, v28
	v_add_f16_e32 v56, v56, v60
	v_add_f16_e32 v57, v57, v61
	v_fma_f16 v60, v20, s2, v58
	v_fma_f16 v58, v20, s2, -v58
	v_fma_f16 v61, v19, s1, -v59
	v_fma_f16 v59, v19, s1, v59
	v_mul_f16_e32 v28, 0xb94e, v28
	v_add_f16_e32 v58, v58, v62
	v_mul_f16_e32 v62, 0xba95, v21
	v_add_f16_e32 v59, v59, v63
	v_fma_f16 v63, v19, s4, -v28
	v_mul_f16_e32 v21, 0xb94e, v21
	v_fma_f16 v19, v19, s4, v28
	v_add_f16_e32 v18, v19, v18
	v_fma_f16 v19, v20, s4, -v21
	v_add_f16_e32 v61, v61, v65
	v_fma_f16 v65, v20, s4, v21
	v_add_f16_e32 v15, v19, v15
	v_add_f16_e32 v19, v22, v27
	v_sub_f16_e32 v21, v22, v27
	v_sub_f16_e32 v22, v41, v46
	v_mul_f16_e32 v27, 0xbb7b, v22
	v_fma_f16 v28, v19, s3, -v27
	v_add_f16_e32 v60, v60, v64
	v_fma_f16 v64, v20, s1, v62
	v_fma_f16 v62, v20, s1, -v62
	v_add_f16_e32 v20, v41, v46
	v_add_f16_e32 v28, v28, v39
	v_mul_f16_e32 v39, 0xbb7b, v21
	v_fma_f16 v27, v19, s3, v27
	v_fma_f16 v41, v20, s3, v39
	v_add_f16_e32 v27, v27, v31
	v_fma_f16 v31, v20, s3, -v39
	v_mul_f16_e32 v39, 0x394e, v22
	v_add_f16_e32 v31, v31, v40
	v_fma_f16 v40, v19, s4, -v39
	v_fma_f16 v39, v19, s4, v39
	v_mul_f16_e32 v46, 0x394e, v21
	v_add_f16_e32 v39, v39, v47
	v_mul_f16_e32 v47, 0x3770, v22
	v_add_f16_e32 v41, v41, v48
	v_add_f16_e32 v40, v40, v49
	v_fma_f16 v48, v20, s4, v46
	v_fma_f16 v46, v20, s4, -v46
	v_fma_f16 v49, v19, s2, -v47
	v_fma_f16 v47, v19, s2, v47
	v_add_f16_e32 v46, v46, v50
	v_mul_f16_e32 v50, 0x3770, v21
	v_add_f16_e32 v47, v47, v51
	v_mul_f16_e32 v51, 0xbbf1, v22
	v_add_f16_e32 v48, v48, v52
	v_add_f16_e32 v49, v49, v53
	v_fma_f16 v52, v20, s2, v50
	v_fma_f16 v50, v20, s2, -v50
	v_fma_f16 v53, v19, s0, -v51
	v_fma_f16 v51, v19, s0, v51
	v_add_f16_e32 v50, v50, v54
	v_mul_f16_e32 v54, 0xbbf1, v21
	v_add_f16_e32 v51, v51, v55
	v_mul_f16_e32 v55, 0x33a8, v22
	v_add_f16_e32 v52, v52, v56
	v_add_f16_e32 v53, v53, v57
	v_fma_f16 v56, v20, s0, v54
	v_fma_f16 v54, v20, s0, -v54
	v_fma_f16 v57, v19, s5, -v55
	v_fma_f16 v55, v19, s5, v55
	v_mul_f16_e32 v22, 0x3a95, v22
	v_add_f16_e32 v54, v54, v58
	v_mul_f16_e32 v58, 0x33a8, v21
	v_add_f16_e32 v55, v55, v59
	v_fma_f16 v59, v19, s1, -v22
	v_mul_f16_e32 v21, 0x3a95, v21
	v_fma_f16 v19, v19, s1, v22
	v_add_f16_e32 v18, v19, v18
	v_fma_f16 v19, v20, s1, -v21
	v_sub_f16_e32 v22, v42, v45
	v_add_f16_e32 v57, v57, v61
	v_fma_f16 v61, v20, s1, v21
	v_add_f16_e32 v15, v19, v15
	v_add_f16_e32 v19, v23, v26
	v_sub_f16_e32 v21, v23, v26
	v_mul_f16_e32 v23, 0xb94e, v22
	v_fma_f16 v26, v19, s4, -v23
	v_add_f16_e32 v56, v56, v60
	v_fma_f16 v60, v20, s5, v58
	v_fma_f16 v58, v20, s5, -v58
	v_add_f16_e32 v20, v42, v45
	v_add_f16_e32 v26, v26, v28
	v_mul_f16_e32 v28, 0xb94e, v21
	v_fma_f16 v23, v19, s4, v23
	v_fma_f16 v42, v20, s4, v28
	v_add_f16_e32 v23, v23, v27
	v_fma_f16 v27, v20, s4, -v28
	v_mul_f16_e32 v28, 0x3bf1, v22
	v_add_f16_e32 v27, v27, v31
	v_fma_f16 v31, v19, s0, -v28
	v_add_f16_e32 v31, v31, v40
	v_mul_f16_e32 v40, 0x3bf1, v21
	v_fma_f16 v28, v19, s0, v28
	v_add_f16_e32 v28, v28, v39
	v_fma_f16 v39, v20, s0, -v40
	v_add_f16_e32 v45, v39, v46
	v_mul_f16_e32 v39, 0xba95, v22
	v_add_f16_e32 v41, v42, v41
	v_fma_f16 v42, v20, s0, v40
	v_fma_f16 v40, v19, s1, -v39
	v_add_f16_e32 v46, v40, v49
	v_mul_f16_e32 v40, 0xba95, v21
	v_fma_f16 v39, v19, s1, v39
	v_add_f16_e32 v47, v39, v47
	v_fma_f16 v39, v20, s1, -v40
	v_add_f16_e32 v49, v39, v50
	v_mul_f16_e32 v39, 0x33a8, v22
	v_add_f16_e32 v42, v42, v48
	v_fma_f16 v48, v20, s1, v40
	;; [unrolled: 10-line block ×3, first 2 shown]
	v_fma_f16 v40, v19, s2, -v39
	v_add_f16_e32 v68, v68, v70
	v_add_f16_e32 v62, v62, v66
	v_add_f16_e32 v54, v40, v57
	v_mul_f16_e32 v40, 0x3770, v21
	v_fma_f16 v39, v19, s2, v39
	v_add_f16_e32 v67, v67, v71
	v_add_f16_e32 v64, v64, v68
	;; [unrolled: 1-line block ×4, first 2 shown]
	v_fma_f16 v39, v20, s2, -v40
	v_mul_f16_e32 v22, 0xbb7b, v22
	v_add_f16_e32 v69, v69, v72
	v_add_f16_e32 v63, v63, v67
	;; [unrolled: 1-line block ×4, first 2 shown]
	v_fma_f16 v56, v20, s2, v40
	v_add_f16_e32 v57, v39, v58
	v_fma_f16 v39, v19, s3, -v22
	v_fma_f16 v19, v19, s3, v22
	v_sub_f16_e32 v64, v24, v25
	v_add_f16_e32 v65, v65, v69
	v_add_f16_e32 v59, v59, v63
	;; [unrolled: 1-line block ×3, first 2 shown]
	v_mul_f16_e32 v21, 0xbb7b, v21
	v_add_f16_e32 v60, v19, v18
	v_add_f16_e32 v63, v43, v44
	v_mul_f16_e32 v19, 0xb3a8, v64
	v_add_f16_e32 v61, v61, v65
	v_add_f16_e32 v58, v39, v59
	v_fma_f16 v39, v20, s3, v21
	v_fma_f16 v18, v20, s3, -v21
	v_sub_f16_e32 v65, v43, v44
	v_fma_f16 v20, v63, s5, v19
	v_add_f16_e32 v59, v39, v61
	v_add_f16_e32 v62, v24, v25
	v_add_f16_e32 v39, v20, v41
	v_fma_f16 v19, v63, s5, -v19
	v_mul_f16_e32 v20, 0x3770, v65
	v_mul_f16_e32 v21, 0x3770, v64
	v_add_f16_e32 v61, v18, v15
	v_mul_f16_e32 v15, 0xb3a8, v65
	v_add_f16_e32 v43, v19, v27
	v_fma_f16 v19, v62, s2, -v20
	v_fma_f16 v22, v63, s2, v21
	v_fma_f16 v20, v62, s2, v20
	v_fma_f16 v18, v62, s5, -v15
	v_fma_f16 v15, v62, s5, v15
	v_add_f16_e32 v40, v22, v42
	v_add_f16_e32 v24, v20, v28
	v_fma_f16 v20, v63, s2, -v21
	v_mul_f16_e32 v21, 0xb94e, v65
	v_mul_f16_e32 v22, 0xb94e, v64
	v_add_f16_e32 v15, v15, v23
	v_add_f16_e32 v44, v20, v45
	v_fma_f16 v20, v62, s4, -v21
	v_fma_f16 v23, v63, s4, v22
	v_fma_f16 v21, v62, s4, v21
	v_add_f16_e32 v41, v23, v48
	v_add_f16_e32 v23, v21, v47
	v_fma_f16 v21, v63, s4, -v22
	v_mul_f16_e32 v22, 0x3a95, v65
	v_mul_f16_e32 v25, 0x3a95, v64
	v_add_f16_e32 v18, v18, v26
	v_add_f16_e32 v19, v19, v31
	v_add_f16_e32 v45, v21, v49
	v_fma_f16 v21, v62, s1, -v22
	v_fma_f16 v26, v63, s1, v25
	v_fma_f16 v22, v62, s1, v22
	v_mul_f16_e32 v27, 0xbb7b, v64
	v_mul_f16_e32 v31, 0x3bf1, v64
	v_add_f16_e32 v42, v26, v52
	v_add_f16_e32 v26, v22, v51
	v_fma_f16 v22, v63, s1, -v25
	v_mul_f16_e32 v25, 0xbb7b, v65
	v_fma_f16 v28, v63, s3, v27
	v_fma_f16 v48, v63, s0, v31
	v_fma_f16 v31, v63, s0, -v31
	v_add_f16_e32 v20, v20, v46
	v_add_f16_e32 v21, v21, v50
	;; [unrolled: 1-line block ×3, first 2 shown]
	v_fma_f16 v22, v62, s3, -v25
	v_add_f16_e32 v46, v28, v56
	v_fma_f16 v27, v63, s3, -v27
	v_mul_f16_e32 v28, 0x3bf1, v65
	v_add_f16_e32 v50, v31, v61
	v_lshl_add_u32 v31, v29, 2, v32
	v_pack_b32_f16 v51, v18, v39
	v_add_f16_e32 v22, v22, v54
	v_add_f16_e32 v49, v27, v57
	v_fma_f16 v27, v62, s0, -v28
	v_fma_f16 v28, v62, s0, v28
	ds_write2_b32 v31, v17, v51 offset1:17
	v_pack_b32_f16 v51, v19, v40
	v_pack_b32_f16 v52, v20, v41
	v_fma_f16 v25, v62, s3, v25
	v_add_f16_e32 v27, v27, v58
	v_add_f16_e32 v48, v48, v59
	;; [unrolled: 1-line block ×3, first 2 shown]
	ds_write2_b32 v31, v51, v52 offset0:34 offset1:51
	v_pack_b32_f16 v51, v21, v42
	v_pack_b32_f16 v52, v22, v46
	v_add_f16_e32 v25, v25, v55
	ds_write2_b32 v31, v51, v52 offset0:68 offset1:85
	v_pack_b32_f16 v51, v27, v48
	v_pack_b32_f16 v52, v28, v50
	ds_write2_b32 v31, v51, v52 offset0:102 offset1:119
	v_pack_b32_f16 v51, v25, v49
	v_pack_b32_f16 v52, v26, v47
	;; [unrolled: 3-line block ×3, first 2 shown]
	ds_write2_b32 v31, v51, v52 offset0:170 offset1:187
	v_pack_b32_f16 v51, v15, v43
	ds_write_b32 v31, v51 offset:816
	s_waitcnt lgkmcnt(0)
	s_barrier
	s_and_saveexec_b64 s[0:1], vcc
	s_cbranch_execz .LBB0_9
; %bb.8:
	global_load_dword v63, v30, s[6:7] offset:884
	s_add_u32 s2, s6, 0x374
	s_addc_u32 s3, s7, 0
	global_load_dword v64, v30, s[2:3] offset:52
	global_load_dword v65, v30, s[2:3] offset:104
	;; [unrolled: 1-line block ×10, first 2 shown]
	ds_read2_b32 v[51:52], v31 offset1:13
	ds_read2_b32 v[53:54], v31 offset0:26 offset1:39
	ds_read2_b32 v[55:56], v31 offset0:52 offset1:65
	ds_read2_b32 v[57:58], v31 offset0:78 offset1:91
	global_load_dword v74, v30, s[2:3] offset:572
	ds_read2_b32 v[59:60], v31 offset0:104 offset1:117
	ds_read2_b32 v[61:62], v31 offset0:130 offset1:143
	global_load_dword v75, v30, s[2:3] offset:624
	global_load_dword v76, v30, s[2:3] offset:676
	;; [unrolled: 1-line block ×5, first 2 shown]
	s_waitcnt lgkmcnt(5)
	v_lshrrev_b32_e32 v80, 16, v51
	v_lshrrev_b32_e32 v81, 16, v52
	s_waitcnt lgkmcnt(4)
	v_lshrrev_b32_e32 v82, 16, v53
	v_lshrrev_b32_e32 v83, 16, v54
	s_waitcnt lgkmcnt(3)
	v_lshrrev_b32_e32 v84, 16, v55
	v_lshrrev_b32_e32 v85, 16, v56
	s_waitcnt lgkmcnt(2)
	v_lshrrev_b32_e32 v86, 16, v57
	v_lshrrev_b32_e32 v87, 16, v58
	s_waitcnt lgkmcnt(1)
	v_lshrrev_b32_e32 v88, 16, v59
	v_lshrrev_b32_e32 v89, 16, v60
	s_waitcnt vmcnt(13)
	v_mul_f16_sdwa v92, v83, v66 dst_sel:DWORD dst_unused:UNUSED_PAD src0_sel:DWORD src1_sel:WORD_1
	v_mul_f16_sdwa v93, v54, v66 dst_sel:DWORD dst_unused:UNUSED_PAD src0_sel:DWORD src1_sel:WORD_1
	s_waitcnt vmcnt(12)
	v_mul_f16_sdwa v94, v84, v67 dst_sel:DWORD dst_unused:UNUSED_PAD src0_sel:DWORD src1_sel:WORD_1
	v_mul_f16_sdwa v95, v55, v67 dst_sel:DWORD dst_unused:UNUSED_PAD src0_sel:DWORD src1_sel:WORD_1
	;; [unrolled: 1-line block ×4, first 2 shown]
	v_fma_f16 v51, v51, v63, -v90
	v_fma_f16 v63, v80, v63, v91
	v_pack_b32_f16 v51, v51, v63
	v_mul_f16_sdwa v63, v81, v64 dst_sel:DWORD dst_unused:UNUSED_PAD src0_sel:DWORD src1_sel:WORD_1
	v_mul_f16_sdwa v80, v52, v64 dst_sel:DWORD dst_unused:UNUSED_PAD src0_sel:DWORD src1_sel:WORD_1
	;; [unrolled: 1-line block ×4, first 2 shown]
	s_waitcnt vmcnt(11)
	v_mul_f16_sdwa v96, v85, v68 dst_sel:DWORD dst_unused:UNUSED_PAD src0_sel:DWORD src1_sel:WORD_1
	v_mul_f16_sdwa v97, v56, v68 dst_sel:DWORD dst_unused:UNUSED_PAD src0_sel:DWORD src1_sel:WORD_1
	s_waitcnt vmcnt(10)
	v_mul_f16_sdwa v98, v86, v69 dst_sel:DWORD dst_unused:UNUSED_PAD src0_sel:DWORD src1_sel:WORD_1
	v_mul_f16_sdwa v99, v57, v69 dst_sel:DWORD dst_unused:UNUSED_PAD src0_sel:DWORD src1_sel:WORD_1
	;; [unrolled: 3-line block ×3, first 2 shown]
	v_fma_f16 v52, v52, v64, -v63
	v_fma_f16 v63, v81, v64, v80
	v_fma_f16 v53, v53, v65, -v90
	v_fma_f16 v64, v82, v65, v91
	;; [unrolled: 2-line block ×7, first 2 shown]
	v_pack_b32_f16 v52, v52, v63
	s_waitcnt vmcnt(8)
	v_mul_f16_sdwa v102, v88, v71 dst_sel:DWORD dst_unused:UNUSED_PAD src0_sel:DWORD src1_sel:WORD_1
	v_mul_f16_sdwa v103, v59, v71 dst_sel:DWORD dst_unused:UNUSED_PAD src0_sel:DWORD src1_sel:WORD_1
	s_waitcnt vmcnt(7)
	v_mul_f16_sdwa v104, v89, v72 dst_sel:DWORD dst_unused:UNUSED_PAD src0_sel:DWORD src1_sel:WORD_1
	v_pack_b32_f16 v53, v53, v64
	v_pack_b32_f16 v54, v54, v65
	;; [unrolled: 1-line block ×6, first 2 shown]
	ds_write2_b32 v31, v51, v52 offset1:13
	ds_write2_b32 v31, v53, v54 offset0:26 offset1:39
	ds_write2_b32 v31, v55, v56 offset0:52 offset1:65
	;; [unrolled: 1-line block ×3, first 2 shown]
	v_mul_f16_sdwa v51, v60, v72 dst_sel:DWORD dst_unused:UNUSED_PAD src0_sel:DWORD src1_sel:WORD_1
	v_fma_f16 v59, v59, v71, -v102
	v_fma_f16 v70, v88, v71, v103
	v_fma_f16 v71, v60, v72, -v104
	v_fma_f16 v51, v89, v72, v51
	v_pack_b32_f16 v59, v59, v70
	v_pack_b32_f16 v51, v71, v51
	ds_write2_b32 v31, v59, v51 offset0:104 offset1:117
	s_waitcnt lgkmcnt(5)
	v_lshrrev_b32_e32 v51, 16, v61
	s_waitcnt vmcnt(6)
	v_mul_f16_sdwa v52, v51, v73 dst_sel:DWORD dst_unused:UNUSED_PAD src0_sel:DWORD src1_sel:WORD_1
	v_mul_f16_sdwa v53, v61, v73 dst_sel:DWORD dst_unused:UNUSED_PAD src0_sel:DWORD src1_sel:WORD_1
	v_fma_f16 v52, v61, v73, -v52
	v_fma_f16 v51, v51, v73, v53
	v_lshrrev_b32_e32 v54, 16, v62
	v_pack_b32_f16 v53, v52, v51
	s_waitcnt vmcnt(5)
	v_mul_f16_sdwa v51, v54, v74 dst_sel:DWORD dst_unused:UNUSED_PAD src0_sel:DWORD src1_sel:WORD_1
	v_fma_f16 v55, v62, v74, -v51
	ds_read2_b32 v[51:52], v31 offset0:156 offset1:169
	v_mul_f16_sdwa v56, v62, v74 dst_sel:DWORD dst_unused:UNUSED_PAD src0_sel:DWORD src1_sel:WORD_1
	v_fma_f16 v54, v54, v74, v56
	v_pack_b32_f16 v54, v55, v54
	ds_write2_b32 v31, v53, v54 offset0:130 offset1:143
	s_waitcnt lgkmcnt(1)
	v_lshrrev_b32_e32 v53, 16, v51
	s_waitcnt vmcnt(4)
	v_mul_f16_sdwa v54, v53, v75 dst_sel:DWORD dst_unused:UNUSED_PAD src0_sel:DWORD src1_sel:WORD_1
	v_fma_f16 v54, v51, v75, -v54
	v_mul_f16_sdwa v51, v51, v75 dst_sel:DWORD dst_unused:UNUSED_PAD src0_sel:DWORD src1_sel:WORD_1
	v_lshrrev_b32_e32 v55, 16, v52
	v_fma_f16 v51, v53, v75, v51
	s_waitcnt vmcnt(3)
	v_mul_f16_sdwa v53, v55, v76 dst_sel:DWORD dst_unused:UNUSED_PAD src0_sel:DWORD src1_sel:WORD_1
	v_pack_b32_f16 v51, v54, v51
	v_fma_f16 v56, v52, v76, -v53
	ds_read2_b32 v[53:54], v31 offset0:182 offset1:195
	v_mul_f16_sdwa v52, v52, v76 dst_sel:DWORD dst_unused:UNUSED_PAD src0_sel:DWORD src1_sel:WORD_1
	v_fma_f16 v52, v55, v76, v52
	v_pack_b32_f16 v52, v56, v52
	ds_write2_b32 v31, v51, v52 offset0:156 offset1:169
	s_waitcnt lgkmcnt(1)
	v_lshrrev_b32_e32 v51, 16, v53
	s_waitcnt vmcnt(2)
	v_mul_f16_sdwa v52, v51, v77 dst_sel:DWORD dst_unused:UNUSED_PAD src0_sel:DWORD src1_sel:WORD_1
	v_fma_f16 v52, v53, v77, -v52
	v_mul_f16_sdwa v53, v53, v77 dst_sel:DWORD dst_unused:UNUSED_PAD src0_sel:DWORD src1_sel:WORD_1
	v_fma_f16 v51, v51, v77, v53
	v_pack_b32_f16 v51, v52, v51
	v_lshrrev_b32_e32 v52, 16, v54
	ds_read_b32 v55, v31 offset:832
	s_waitcnt vmcnt(1)
	v_mul_f16_sdwa v53, v52, v78 dst_sel:DWORD dst_unused:UNUSED_PAD src0_sel:DWORD src1_sel:WORD_1
	v_fma_f16 v53, v54, v78, -v53
	v_mul_f16_sdwa v54, v54, v78 dst_sel:DWORD dst_unused:UNUSED_PAD src0_sel:DWORD src1_sel:WORD_1
	v_fma_f16 v52, v52, v78, v54
	v_pack_b32_f16 v52, v53, v52
	ds_write2_b32 v31, v51, v52 offset0:182 offset1:195
	s_waitcnt lgkmcnt(1)
	v_lshrrev_b32_e32 v51, 16, v55
	s_waitcnt vmcnt(0)
	v_mul_f16_sdwa v52, v51, v79 dst_sel:DWORD dst_unused:UNUSED_PAD src0_sel:DWORD src1_sel:WORD_1
	v_mul_f16_sdwa v53, v55, v79 dst_sel:DWORD dst_unused:UNUSED_PAD src0_sel:DWORD src1_sel:WORD_1
	v_fma_f16 v52, v55, v79, -v52
	v_fma_f16 v51, v51, v79, v53
	v_pack_b32_f16 v51, v52, v51
	ds_write_b32 v31, v51 offset:832
.LBB0_9:
	s_or_b64 exec, exec, s[0:1]
	s_waitcnt lgkmcnt(0)
	s_barrier
	s_and_saveexec_b64 s[0:1], vcc
	s_cbranch_execz .LBB0_11
; %bb.10:
	ds_read2_b32 v[17:18], v31 offset1:13
	ds_read2_b32 v[19:20], v31 offset0:26 offset1:39
	ds_read2_b32 v[21:22], v31 offset0:52 offset1:65
	;; [unrolled: 1-line block ×7, first 2 shown]
	ds_read_b32 v33, v31 offset:832
	s_waitcnt lgkmcnt(8)
	v_lshrrev_b32_e32 v39, 16, v18
	s_waitcnt lgkmcnt(7)
	v_lshrrev_b32_e32 v40, 16, v19
	v_lshrrev_b32_e32 v41, 16, v20
	s_waitcnt lgkmcnt(6)
	v_lshrrev_b32_e32 v42, 16, v21
	;; [unrolled: 3-line block ×8, first 2 shown]
.LBB0_11:
	s_or_b64 exec, exec, s[0:1]
	s_barrier
	s_and_saveexec_b64 s[0:1], vcc
	s_cbranch_execz .LBB0_13
; %bb.12:
	v_add_f16_e32 v74, v34, v39
	v_mul_f16_e32 v75, 0xbbdd, v74
	v_sub_f16_e32 v52, v18, v33
	s_movk_i32 s25, 0x31e1
	v_add_f16_e32 v76, v35, v40
	v_fma_f16 v51, v52, s25, v75
	v_mul_f16_e32 v77, 0x3b76, v76
	v_sub_f16_e32 v53, v19, v14
	s_mov_b32 s15, 0xb5c8
	v_add_f16_sdwa v51, v51, v17 dst_sel:DWORD dst_unused:UNUSED_PAD src0_sel:DWORD src1_sel:WORD_1
	v_fma_f16 v54, v53, s15, v77
	v_add_f16_e32 v78, v36, v41
	v_add_f16_e32 v51, v54, v51
	v_mul_f16_e32 v79, 0xbacd, v78
	v_sub_f16_e32 v54, v20, v13
	s_movk_i32 s21, 0x3836
	v_fma_f16 v55, v54, s21, v79
	v_add_f16_e32 v80, v37, v42
	v_add_f16_e32 v51, v55, v51
	v_mul_f16_e32 v81, 0x39e9, v80
	v_sub_f16_e32 v55, v21, v16
	s_mov_b32 s18, 0xb964
	v_fma_f16 v56, v55, s18, v81
	v_add_f16_e32 v82, v43, v46
	v_add_f16_e32 v51, v56, v51
	v_mul_f16_e32 v83, 0xb8d2, v82
	v_sub_f16_e32 v56, v22, v15
	s_movk_i32 s31, 0x3a62
	v_add_f16_e32 v84, v44, v48
	v_fma_f16 v57, v56, s31, v83
	v_mul_f16_e32 v85, 0x3722, v84
	v_sub_f16_e32 v58, v27, v24
	s_mov_b32 s20, 0xbb29
	v_add_f16_e32 v86, v45, v50
	v_add_f16_e32 v51, v57, v51
	v_fma_f16 v57, v58, s20, v85
	v_mul_f16_e32 v87, 0xb461, v86
	v_sub_f16_e32 v59, v28, v23
	s_movk_i32 s26, 0x3bb2
	v_add_f16_e32 v88, v47, v49
	v_add_f16_e32 v51, v57, v51
	v_fma_f16 v57, v59, s26, v87
	v_mul_f16_e32 v89, 0x2de8, v88
	v_sub_f16_e32 v60, v25, v26
	s_mov_b32 s23, 0xbbf7
	v_sub_f16_e32 v90, v39, v34
	s_mov_b32 s2, 0xbbdd
	v_add_f16_e32 v51, v57, v51
	v_fma_f16 v57, v60, s23, v89
	v_add_f16_e32 v61, v33, v18
	v_mul_f16_e32 v91, 0xb1e1, v90
	v_sub_f16_e32 v92, v40, v35
	s_movk_i32 s4, 0x3b76
	v_add_f16_e32 v51, v57, v51
	v_fma_f16 v57, v61, s2, v91
	v_add_f16_e32 v62, v14, v19
	v_mul_f16_e32 v93, 0x35c8, v92
	v_add_f16_e32 v57, v57, v17
	v_fma_f16 v63, v62, s4, v93
	v_sub_f16_e32 v94, v41, v36
	s_mov_b32 s3, 0xbacd
	v_add_f16_e32 v57, v63, v57
	v_add_f16_e32 v63, v13, v20
	v_mul_f16_e32 v95, 0xb836, v94
	v_sub_f16_e32 v96, v42, v37
	s_movk_i32 s14, 0x39e9
	v_fma_f16 v64, v63, s3, v95
	v_add_f16_e32 v65, v16, v21
	v_mul_f16_e32 v97, 0x3964, v96
	v_sub_f16_e32 v98, v46, v43
	s_mov_b32 s5, 0xb8d2
	v_add_f16_e32 v57, v64, v57
	v_fma_f16 v64, v65, s14, v97
	v_add_f16_e32 v66, v15, v22
	v_mul_f16_e32 v99, 0xba62, v98
	v_sub_f16_e32 v100, v48, v44
	s_movk_i32 s16, 0x3722
	v_add_f16_e32 v57, v64, v57
	v_fma_f16 v64, v66, s5, v99
	v_add_f16_e32 v67, v24, v27
	v_mul_f16_e32 v101, 0x3b29, v100
	v_sub_f16_e32 v102, v50, v45
	s_mov_b32 s17, 0xb461
	v_add_f16_e32 v57, v64, v57
	v_fma_f16 v64, v67, s16, v101
	v_add_f16_e32 v68, v23, v28
	v_mul_f16_e32 v103, 0xbbb2, v102
	v_sub_f16_e32 v104, v49, v47
	s_movk_i32 s19, 0x2de8
	v_add_f16_e32 v57, v64, v57
	v_fma_f16 v64, v68, s17, v103
	v_add_f16_e32 v69, v26, v25
	v_mul_f16_e32 v105, 0x3bf7, v104
	v_add_f16_e32 v57, v64, v57
	v_fma_f16 v64, v69, s19, v105
	v_mul_f16_e32 v106, 0xbacd, v74
	v_add_f16_e32 v57, v64, v57
	v_fma_f16 v64, v52, s21, v106
	v_mul_f16_e32 v107, 0x3722, v76
	s_movk_i32 s34, 0x3bf7
	v_add_f16_sdwa v64, v64, v17 dst_sel:DWORD dst_unused:UNUSED_PAD src0_sel:DWORD src1_sel:WORD_1
	v_fma_f16 v70, v53, s20, v107
	v_mul_f16_e32 v108, 0x2de8, v78
	s_mov_b32 s27, 0xba62
	v_add_f16_e32 v64, v70, v64
	v_fma_f16 v70, v54, s34, v108
	v_mul_f16_e32 v109, 0xb8d2, v80
	s_movk_i32 s28, 0x35c8
	v_add_f16_e32 v64, v70, v64
	v_fma_f16 v70, v55, s27, v109
	v_mul_f16_e32 v110, 0x3b76, v82
	v_add_f16_e32 v64, v70, v64
	v_fma_f16 v70, v56, s28, v110
	v_mul_f16_e32 v111, 0xbbdd, v84
	;; [unrolled: 3-line block ×13, first 2 shown]
	s_mov_b32 s29, 0xbbb2
	v_add_f16_e32 v70, v71, v70
	v_fma_f16 v71, v52, s31, v122
	v_mul_f16_e32 v123, 0xb461, v76
	v_add_f16_sdwa v71, v71, v17 dst_sel:DWORD dst_unused:UNUSED_PAD src0_sel:DWORD src1_sel:WORD_1
	v_fma_f16 v72, v53, s29, v123
	v_mul_f16_e32 v124, 0x3b76, v78
	v_add_f16_e32 v71, v72, v71
	v_fma_f16 v72, v54, s28, v124
	v_mul_f16_e32 v125, 0xbacd, v80
	v_add_f16_e32 v71, v72, v71
	v_fma_f16 v72, v55, s21, v125
	v_mul_f16_e32 v126, 0x2de8, v82
	s_movk_i32 s33, 0x3964
	v_add_f16_e32 v71, v72, v71
	v_fma_f16 v72, v56, s23, v126
	v_mul_f16_e32 v127, 0x39e9, v84
	v_add_f16_e32 v71, v72, v71
	v_fma_f16 v72, v58, s33, v127
	v_mul_f16_e32 v128, 0xbbdd, v86
	;; [unrolled: 3-line block ×12, first 2 shown]
	s_mov_b32 s24, 0xb836
	v_add_f16_e32 v72, v73, v72
	v_fma_f16 v73, v52, s26, v138
	v_mul_f16_e32 v139, 0xbacd, v76
	v_add_f16_sdwa v73, v73, v17 dst_sel:DWORD dst_unused:UNUSED_PAD src0_sel:DWORD src1_sel:WORD_1
	v_fma_f16 v140, v53, s24, v139
	v_add_f16_e32 v73, v140, v73
	v_mul_f16_e32 v140, 0x39e9, v78
	v_fma_f16 v141, v54, s18, v140
	s_movk_i32 s30, 0x3b29
	v_add_f16_e32 v73, v141, v73
	v_mul_f16_e32 v141, 0x3722, v80
	v_fma_f16 v142, v55, s30, v141
	v_add_f16_e32 v73, v142, v73
	v_mul_f16_e32 v142, 0xbbdd, v82
	v_fma_f16 v143, v56, s25, v142
	;; [unrolled: 3-line block ×6, first 2 shown]
	v_mul_f16_e32 v148, 0x3836, v92
	v_add_f16_e32 v147, v147, v17
	v_fma_f16 v149, v62, s3, v148
	v_add_f16_e32 v147, v149, v147
	v_mul_f16_e32 v149, 0x3964, v94
	v_fma_f16 v150, v63, s14, v149
	v_add_f16_e32 v147, v150, v147
	v_mul_f16_e32 v150, 0xbb29, v96
	;; [unrolled: 3-line block ×3, first 2 shown]
	s_mov_b32 s22, 0xb1e1
	v_fma_f16 v152, v66, s2, v151
	v_add_f16_e32 v147, v152, v147
	v_mul_f16_e32 v152, 0x3bf7, v100
	v_fma_f16 v75, v52, s22, v75
	v_fma_f16 v153, v67, s19, v152
	v_add_f16_sdwa v75, v75, v17 dst_sel:DWORD dst_unused:UNUSED_PAD src0_sel:DWORD src1_sel:WORD_1
	v_fma_f16 v77, v53, s28, v77
	v_add_f16_e32 v147, v153, v147
	v_mul_f16_e32 v153, 0xb5c8, v102
	v_add_f16_e32 v75, v77, v75
	v_fma_f16 v77, v54, s24, v79
	v_fma_f16 v154, v68, s4, v153
	v_add_f16_e32 v75, v77, v75
	v_fma_f16 v77, v55, s33, v81
	v_add_f16_e32 v147, v154, v147
	v_mul_f16_e32 v154, 0xba62, v104
	v_add_f16_e32 v75, v77, v75
	v_fma_f16 v77, v56, s27, v83
	v_fma_f16 v155, v69, s5, v154
	v_add_f16_e32 v75, v77, v75
	v_fma_f16 v77, v58, s30, v85
	v_add_f16_e32 v147, v155, v147
	v_mul_f16_e32 v155, 0x2de8, v74
	v_add_f16_e32 v75, v77, v75
	v_fma_f16 v77, v59, s29, v87
	v_fma_f16 v156, v52, s34, v155
	v_mul_f16_e32 v157, 0xbbdd, v76
	v_add_f16_e32 v75, v77, v75
	v_fma_f16 v77, v60, s34, v89
	v_add_f16_sdwa v156, v156, v17 dst_sel:DWORD dst_unused:UNUSED_PAD src0_sel:DWORD src1_sel:WORD_1
	v_fma_f16 v158, v53, s25, v157
	v_add_f16_e32 v75, v77, v75
	v_fma_f16 v77, v61, s2, -v91
	v_add_f16_e32 v156, v158, v156
	v_mul_f16_e32 v158, 0xb461, v78
	v_add_f16_e32 v77, v77, v17
	v_fma_f16 v79, v62, s4, -v93
	v_fma_f16 v159, v54, s29, v158
	v_add_f16_e32 v77, v79, v77
	v_fma_f16 v79, v63, s3, -v95
	v_add_f16_e32 v156, v159, v156
	v_mul_f16_e32 v159, 0x3b76, v80
	v_add_f16_e32 v77, v79, v77
	v_fma_f16 v79, v65, s14, -v97
	;; [unrolled: 7-line block ×4, first 2 shown]
	v_fma_f16 v162, v58, s21, v161
	v_add_f16_e32 v77, v79, v77
	v_fma_f16 v79, v52, s24, v106
	v_add_f16_e32 v156, v162, v156
	v_mul_f16_e32 v162, 0xb8d2, v86
	v_add_f16_sdwa v79, v79, v17 dst_sel:DWORD dst_unused:UNUSED_PAD src0_sel:DWORD src1_sel:WORD_1
	v_fma_f16 v81, v53, s30, v107
	v_fma_f16 v163, v59, s27, v162
	v_add_f16_e32 v79, v81, v79
	v_fma_f16 v81, v54, s23, v108
	v_add_f16_e32 v156, v163, v156
	v_mul_f16_e32 v163, 0x39e9, v88
	v_add_f16_e32 v79, v81, v79
	v_fma_f16 v81, v55, s31, v109
	v_fma_f16 v164, v60, s18, v163
	v_add_f16_e32 v79, v81, v79
	v_fma_f16 v81, v56, s15, v110
	v_add_f16_e32 v156, v164, v156
	v_mul_f16_e32 v164, 0xbbf7, v90
	v_add_f16_e32 v79, v81, v79
	v_fma_f16 v81, v58, s22, v111
	v_fma_f16 v165, v61, s19, v164
	v_mul_f16_e32 v166, 0xb1e1, v92
	v_add_f16_e32 v79, v81, v79
	v_fma_f16 v81, v59, s33, v112
	v_add_f16_e32 v165, v165, v17
	v_fma_f16 v167, v62, s2, v166
	;; [unrolled: 2-line block ×3, first 2 shown]
	v_add_f16_e32 v165, v167, v165
	v_mul_f16_e32 v167, 0x3bb2, v94
	v_add_f16_e32 v79, v81, v79
	v_fma_f16 v81, v61, s3, -v114
	v_fma_f16 v168, v63, s17, v167
	v_add_f16_e32 v81, v81, v17
	v_fma_f16 v83, v62, s16, -v115
	v_add_f16_e32 v165, v168, v165
	v_mul_f16_e32 v168, 0x35c8, v96
	v_add_f16_e32 v81, v83, v81
	v_fma_f16 v83, v63, s19, -v116
	v_fma_f16 v169, v65, s4, v168
	v_add_f16_e32 v81, v83, v81
	v_fma_f16 v83, v65, s5, -v117
	;; [unrolled: 7-line block ×4, first 2 shown]
	v_add_f16_e32 v165, v171, v165
	v_mul_f16_e32 v171, 0x3a62, v102
	v_add_f16_e32 v81, v83, v81
	v_fma_f16 v83, v52, s27, v122
	v_fma_f16 v172, v68, s5, v171
	v_add_f16_sdwa v83, v83, v17 dst_sel:DWORD dst_unused:UNUSED_PAD src0_sel:DWORD src1_sel:WORD_1
	v_fma_f16 v85, v53, s26, v123
	v_add_f16_e32 v165, v172, v165
	v_mul_f16_e32 v172, 0x3964, v104
	v_add_f16_e32 v83, v85, v83
	v_fma_f16 v85, v54, s15, v124
	v_fma_f16 v173, v69, s14, v172
	v_add_f16_e32 v83, v85, v83
	v_fma_f16 v85, v55, s24, v125
	v_add_f16_e32 v165, v173, v165
	v_mul_f16_e32 v173, 0x3722, v74
	v_add_f16_e32 v83, v85, v83
	v_fma_f16 v85, v56, s34, v126
	v_fma_f16 v174, v52, s30, v173
	v_mul_f16_e32 v175, 0xb8d2, v76
	v_add_f16_e32 v83, v85, v83
	v_fma_f16 v85, v58, s18, v127
	v_add_f16_sdwa v174, v174, v17 dst_sel:DWORD dst_unused:UNUSED_PAD src0_sel:DWORD src1_sel:WORD_1
	v_fma_f16 v176, v53, s31, v175
	v_add_f16_e32 v83, v85, v83
	v_fma_f16 v85, v59, s22, v128
	v_add_f16_e32 v174, v176, v174
	v_mul_f16_e32 v176, 0xbbdd, v78
	v_add_f16_e32 v83, v85, v83
	v_fma_f16 v85, v60, s30, v129
	v_fma_f16 v177, v54, s22, v176
	v_add_f16_e32 v83, v85, v83
	v_fma_f16 v85, v61, s5, -v130
	v_add_f16_e32 v174, v177, v174
	v_mul_f16_e32 v177, 0xb461, v80
	v_add_f16_e32 v85, v85, v17
	v_fma_f16 v87, v62, s17, -v131
	v_fma_f16 v178, v55, s29, v177
	v_add_f16_e32 v85, v87, v85
	v_fma_f16 v87, v63, s4, -v132
	v_add_f16_e32 v174, v178, v174
	v_mul_f16_e32 v178, 0x39e9, v82
	v_add_f16_e32 v85, v87, v85
	v_fma_f16 v87, v65, s3, -v133
	;; [unrolled: 7-line block ×4, first 2 shown]
	v_fma_f16 v181, v59, s34, v180
	v_add_f16_e32 v85, v87, v85
	v_fma_f16 v87, v52, s29, v138
	v_add_f16_e32 v174, v181, v174
	v_mul_f16_e32 v181, 0xbacd, v88
	v_add_f16_sdwa v87, v87, v17 dst_sel:DWORD dst_unused:UNUSED_PAD src0_sel:DWORD src1_sel:WORD_1
	v_fma_f16 v89, v53, s21, v139
	v_fma_f16 v182, v60, s21, v181
	v_add_f16_e32 v87, v89, v87
	v_fma_f16 v89, v54, s33, v140
	v_add_f16_e32 v174, v182, v174
	v_mul_f16_e32 v182, 0xbb29, v90
	v_add_f16_e32 v87, v89, v87
	v_fma_f16 v89, v55, s20, v141
	v_fma_f16 v183, v61, s16, v182
	v_mul_f16_e32 v184, 0xba62, v92
	v_add_f16_e32 v87, v89, v87
	v_fma_f16 v89, v56, s22, v142
	v_add_f16_e32 v183, v183, v17
	v_fma_f16 v185, v62, s5, v184
	;; [unrolled: 2-line block ×3, first 2 shown]
	v_add_f16_e32 v183, v185, v183
	v_mul_f16_e32 v185, 0x31e1, v94
	v_add_f16_e32 v87, v89, v87
	v_fma_f16 v89, v59, s15, v144
	v_fma_f16 v186, v63, s2, v185
	v_add_f16_e32 v87, v89, v87
	v_fma_f16 v89, v60, s27, v145
	v_add_f16_e32 v183, v186, v183
	v_mul_f16_e32 v186, 0x3bb2, v96
	v_add_f16_e32 v87, v89, v87
	v_fma_f16 v89, v61, s17, -v146
	v_fma_f16 v187, v65, s17, v186
	v_add_f16_e32 v89, v89, v17
	v_fma_f16 v91, v62, s3, -v148
	v_add_f16_e32 v183, v187, v183
	v_mul_f16_e32 v187, 0x3964, v98
	v_add_f16_e32 v89, v91, v89
	v_fma_f16 v91, v63, s14, -v149
	v_fma_f16 v188, v66, s14, v187
	v_add_f16_e32 v89, v91, v89
	v_fma_f16 v91, v65, s16, -v150
	;; [unrolled: 7-line block ×4, first 2 shown]
	v_add_f16_e32 v183, v190, v183
	v_mul_f16_e32 v190, 0xb836, v104
	v_add_f16_e32 v89, v91, v89
	v_fma_f16 v91, v52, s23, v155
	v_fma_f16 v191, v69, s3, v190
	v_add_f16_sdwa v91, v91, v17 dst_sel:DWORD dst_unused:UNUSED_PAD src0_sel:DWORD src1_sel:WORD_1
	v_fma_f16 v93, v53, s22, v157
	v_add_f16_e32 v183, v191, v183
	v_mul_f16_e32 v191, 0x39e9, v74
	v_add_f16_e32 v91, v93, v91
	v_fma_f16 v93, v54, s26, v158
	v_fma_f16 v192, v52, s33, v191
	v_mul_f16_e32 v193, 0x2de8, v76
	v_add_f16_e32 v91, v93, v91
	v_fma_f16 v93, v55, s28, v159
	v_add_f16_sdwa v192, v192, v17 dst_sel:DWORD dst_unused:UNUSED_PAD src0_sel:DWORD src1_sel:WORD_1
	v_fma_f16 v194, v53, s34, v193
	v_add_f16_e32 v91, v93, v91
	v_fma_f16 v93, v56, s20, v160
	v_add_f16_e32 v192, v194, v192
	v_mul_f16_e32 v194, 0xb8d2, v78
	v_add_f16_e32 v91, v93, v91
	v_fma_f16 v93, v58, s24, v161
	v_fma_f16 v195, v54, s31, v194
	v_add_f16_e32 v91, v93, v91
	v_fma_f16 v93, v59, s31, v162
	v_add_f16_e32 v192, v195, v192
	v_mul_f16_e32 v195, 0xbbdd, v80
	v_add_f16_e32 v91, v93, v91
	v_fma_f16 v93, v60, s33, v163
	v_fma_f16 v196, v55, s25, v195
	v_add_f16_e32 v91, v93, v91
	v_fma_f16 v93, v61, s19, -v164
	v_add_f16_e32 v192, v196, v192
	v_mul_f16_e32 v196, 0xbacd, v82
	v_add_f16_e32 v93, v93, v17
	v_fma_f16 v95, v62, s2, -v166
	v_fma_f16 v197, v56, s24, v196
	v_add_f16_e32 v93, v95, v93
	v_fma_f16 v95, v63, s17, -v167
	v_add_f16_e32 v192, v197, v192
	v_mul_f16_e32 v197, 0xb461, v84
	v_add_f16_e32 v93, v95, v93
	v_fma_f16 v95, v65, s4, -v168
	;; [unrolled: 7-line block ×4, first 2 shown]
	v_fma_f16 v200, v60, s15, v199
	v_add_f16_e32 v93, v95, v93
	v_fma_f16 v95, v52, s20, v173
	v_add_f16_e32 v192, v200, v192
	v_mul_f16_e32 v200, 0xb964, v90
	v_add_f16_sdwa v95, v95, v17 dst_sel:DWORD dst_unused:UNUSED_PAD src0_sel:DWORD src1_sel:WORD_1
	v_fma_f16 v97, v53, s27, v175
	v_fma_f16 v201, v61, s14, v200
	v_mul_f16_e32 v202, 0xbbf7, v92
	v_add_f16_e32 v95, v97, v95
	v_fma_f16 v97, v54, s25, v176
	v_add_f16_e32 v201, v201, v17
	v_fma_f16 v203, v62, s19, v202
	;; [unrolled: 2-line block ×3, first 2 shown]
	v_add_f16_e32 v201, v203, v201
	v_mul_f16_e32 v203, 0xba62, v94
	v_add_f16_e32 v95, v97, v95
	v_fma_f16 v97, v56, s33, v178
	v_fma_f16 v204, v63, s5, v203
	v_add_f16_e32 v95, v97, v95
	v_fma_f16 v97, v58, s15, v179
	v_add_f16_e32 v201, v204, v201
	v_mul_f16_e32 v204, 0xb1e1, v96
	v_add_f16_e32 v95, v97, v95
	v_fma_f16 v97, v59, s23, v180
	v_fma_f16 v205, v65, s2, v204
	v_add_f16_e32 v95, v97, v95
	v_fma_f16 v97, v60, s24, v181
	v_add_f16_e32 v201, v205, v201
	v_mul_f16_e32 v205, 0x3836, v98
	v_add_f16_e32 v95, v97, v95
	v_fma_f16 v97, v61, s16, -v182
	v_fma_f16 v206, v66, s3, v205
	v_add_f16_e32 v97, v97, v17
	v_fma_f16 v99, v62, s5, -v184
	v_add_f16_e32 v201, v206, v201
	v_mul_f16_e32 v206, 0x3bb2, v100
	v_add_f16_e32 v97, v99, v97
	v_fma_f16 v99, v63, s2, -v185
	v_fma_f16 v207, v67, s17, v206
	v_add_f16_e32 v97, v99, v97
	v_fma_f16 v99, v65, s17, -v186
	;; [unrolled: 7-line block ×3, first 2 shown]
	v_add_f16_e32 v201, v208, v201
	v_mul_f16_e32 v208, 0x35c8, v104
	v_add_f16_e32 v97, v99, v97
	v_fma_f16 v99, v68, s19, -v189
	v_fma_f16 v209, v69, s4, v208
	v_mul_f16_e32 v74, 0x3b76, v74
	v_add_f16_e32 v97, v99, v97
	v_fma_f16 v99, v69, s3, -v190
	v_add_f16_e32 v201, v209, v201
	v_fma_f16 v209, v52, s28, v74
	v_mul_f16_e32 v76, 0x39e9, v76
	v_add_f16_e32 v97, v99, v97
	v_fma_f16 v99, v52, s18, v191
	v_fma_f16 v52, v52, s15, v74
	v_add_f16_sdwa v209, v209, v17 dst_sel:DWORD dst_unused:UNUSED_PAD src0_sel:DWORD src1_sel:WORD_1
	v_fma_f16 v210, v53, s33, v76
	v_mul_f16_e32 v78, 0x3722, v78
	v_add_f16_sdwa v99, v99, v17 dst_sel:DWORD dst_unused:UNUSED_PAD src0_sel:DWORD src1_sel:WORD_1
	v_fma_f16 v101, v53, s23, v193
	v_add_f16_sdwa v52, v52, v17 dst_sel:DWORD dst_unused:UNUSED_PAD src0_sel:DWORD src1_sel:WORD_1
	v_fma_f16 v53, v53, s18, v76
	v_add_f16_e32 v209, v210, v209
	v_fma_f16 v210, v54, s30, v78
	v_mul_f16_e32 v80, 0x2de8, v80
	v_add_f16_e32 v99, v101, v99
	v_fma_f16 v101, v54, s27, v194
	v_add_f16_e32 v52, v53, v52
	v_fma_f16 v53, v54, s20, v78
	v_add_f16_e32 v209, v210, v209
	v_fma_f16 v210, v55, s34, v80
	v_mul_f16_e32 v82, 0xb461, v82
	v_add_f16_e32 v99, v101, v99
	v_fma_f16 v101, v55, s22, v195
	v_add_f16_e32 v52, v53, v52
	;; [unrolled: 7-line block ×6, first 2 shown]
	v_fma_f16 v53, v60, s22, v88
	v_add_f16_e32 v209, v210, v209
	v_fma_f16 v210, v61, s4, v90
	v_add_f16_e32 v99, v101, v99
	v_fma_f16 v101, v61, s14, -v200
	v_add_f16_e32 v52, v53, v52
	v_fma_f16 v53, v61, s4, -v90
	v_add_f16_e32 v210, v210, v17
	v_add_f16_e32 v101, v101, v17
	;; [unrolled: 1-line block ×3, first 2 shown]
	v_add_f16_sdwa v39, v39, v17 dst_sel:DWORD dst_unused:UNUSED_PAD src0_sel:DWORD src1_sel:WORD_1
	v_add_f16_e32 v17, v18, v17
	v_add_f16_e32 v39, v40, v39
	;; [unrolled: 1-line block ×15, first 2 shown]
	v_mul_f16_e32 v92, 0xb964, v92
	v_add_f16_e32 v39, v47, v39
	v_add_f16_e32 v17, v26, v17
	v_fma_f16 v211, v62, s14, v92
	v_mul_f16_e32 v94, 0xbb29, v94
	v_add_f16_e32 v39, v45, v39
	v_add_f16_e32 v17, v23, v17
	v_add_f16_e32 v210, v211, v210
	v_fma_f16 v211, v63, s16, v94
	v_mul_f16_e32 v96, 0xbbf7, v96
	v_add_f16_e32 v39, v44, v39
	;; [unrolled: 5-line block ×6, first 2 shown]
	v_add_f16_e32 v13, v14, v13
	v_add_f16_e32 v210, v211, v210
	v_fma_f16 v211, v69, s2, v104
	v_add_f16_sdwa v34, v34, v35 dst_sel:WORD_1 dst_unused:UNUSED_PAD src0_sel:DWORD src1_sel:DWORD
	v_add_f16_e32 v13, v33, v13
	v_mul_lo_u16_e32 v14, 17, v29
	v_add_f16_e32 v210, v211, v210
	v_fma_f16 v103, v62, s19, -v202
	v_fma_f16 v54, v62, s14, -v92
	v_or_b32_e32 v13, v34, v13
	v_lshl_add_u32 v14, v14, 2, v32
	v_add_f16_e32 v101, v103, v101
	v_fma_f16 v103, v63, s5, -v203
	v_add_f16_e32 v53, v54, v53
	v_fma_f16 v54, v63, s16, -v94
	ds_write_b32 v14, v13
	v_pack_b32_f16 v13, v201, v192
	v_pack_b32_f16 v15, v210, v209
	v_add_f16_e32 v101, v103, v101
	v_fma_f16 v103, v65, s2, -v204
	v_add_f16_e32 v53, v54, v53
	v_fma_f16 v54, v65, s19, -v96
	ds_write2_b32 v14, v15, v13 offset0:1 offset1:2
	v_pack_b32_f16 v13, v165, v156
	v_pack_b32_f16 v15, v183, v174
	v_add_f16_e32 v101, v103, v101
	v_fma_f16 v103, v66, s3, -v205
	v_add_f16_e32 v53, v54, v53
	v_fma_f16 v54, v66, s17, -v98
	ds_write2_b32 v14, v15, v13 offset0:3 offset1:4
	;; [unrolled: 7-line block ×5, first 2 shown]
	v_pack_b32_f16 v13, v89, v87
	v_pack_b32_f16 v15, v85, v83
	v_add_f16_e32 v101, v103, v101
	v_add_f16_e32 v53, v54, v53
	ds_write2_b32 v14, v15, v13 offset0:11 offset1:12
	v_pack_b32_f16 v13, v97, v95
	v_pack_b32_f16 v15, v93, v91
	ds_write2_b32 v14, v15, v13 offset0:13 offset1:14
	v_pack_b32_f16 v13, v53, v52
	v_pack_b32_f16 v15, v101, v99
	ds_write2_b32 v14, v15, v13 offset0:15 offset1:16
.LBB0_13:
	s_or_b64 exec, exec, s[0:1]
	s_waitcnt lgkmcnt(0)
	s_barrier
	ds_read2_b32 v[13:14], v38 offset1:17
	ds_read2_b32 v[15:16], v38 offset0:34 offset1:51
	ds_read2_b32 v[17:18], v38 offset0:68 offset1:85
	;; [unrolled: 1-line block ×4, first 2 shown]
	s_waitcnt lgkmcnt(4)
	v_lshrrev_b32_e32 v25, 16, v14
	v_mul_f16_sdwa v41, v0, v25 dst_sel:DWORD dst_unused:UNUSED_PAD src0_sel:WORD_1 src1_sel:DWORD
	s_waitcnt lgkmcnt(3)
	v_lshrrev_b32_e32 v26, 16, v15
	v_fma_f16 v41, v0, v14, v41
	v_mul_f16_sdwa v14, v0, v14 dst_sel:DWORD dst_unused:UNUSED_PAD src0_sel:WORD_1 src1_sel:DWORD
	v_fma_f16 v0, v0, v25, -v14
	v_mul_f16_sdwa v14, v1, v26 dst_sel:DWORD dst_unused:UNUSED_PAD src0_sel:WORD_1 src1_sel:DWORD
	v_lshrrev_b32_e32 v27, 16, v16
	v_fma_f16 v14, v1, v15, v14
	v_mul_f16_sdwa v15, v1, v15 dst_sel:DWORD dst_unused:UNUSED_PAD src0_sel:WORD_1 src1_sel:DWORD
	v_fma_f16 v1, v1, v26, -v15
	v_mul_f16_sdwa v15, v2, v27 dst_sel:DWORD dst_unused:UNUSED_PAD src0_sel:WORD_1 src1_sel:DWORD
	s_waitcnt lgkmcnt(2)
	v_lshrrev_b32_e32 v28, 16, v17
	v_fma_f16 v15, v2, v16, v15
	v_mul_f16_sdwa v16, v2, v16 dst_sel:DWORD dst_unused:UNUSED_PAD src0_sel:WORD_1 src1_sel:DWORD
	v_fma_f16 v2, v2, v27, -v16
	v_mul_f16_sdwa v16, v3, v28 dst_sel:DWORD dst_unused:UNUSED_PAD src0_sel:WORD_1 src1_sel:DWORD
	v_lshrrev_b32_e32 v32, 16, v18
	v_fma_f16 v16, v3, v17, v16
	v_mul_f16_sdwa v17, v3, v17 dst_sel:DWORD dst_unused:UNUSED_PAD src0_sel:WORD_1 src1_sel:DWORD
	v_fma_f16 v3, v3, v28, -v17
	v_mul_f16_sdwa v17, v4, v32 dst_sel:DWORD dst_unused:UNUSED_PAD src0_sel:WORD_1 src1_sel:DWORD
	s_waitcnt lgkmcnt(1)
	v_lshrrev_b32_e32 v33, 16, v19
	v_fma_f16 v17, v4, v18, v17
	v_mul_f16_sdwa v18, v4, v18 dst_sel:DWORD dst_unused:UNUSED_PAD src0_sel:WORD_1 src1_sel:DWORD
	v_fma_f16 v4, v4, v32, -v18
	v_mul_f16_sdwa v18, v5, v33 dst_sel:DWORD dst_unused:UNUSED_PAD src0_sel:WORD_1 src1_sel:DWORD
	v_lshrrev_b32_e32 v34, 16, v20
	v_fma_f16 v18, v5, v19, v18
	v_mul_f16_sdwa v19, v5, v19 dst_sel:DWORD dst_unused:UNUSED_PAD src0_sel:WORD_1 src1_sel:DWORD
	ds_read2_b32 v[23:24], v38 offset0:170 offset1:187
	v_fma_f16 v5, v5, v33, -v19
	v_mul_f16_sdwa v19, v6, v34 dst_sel:DWORD dst_unused:UNUSED_PAD src0_sel:WORD_1 src1_sel:DWORD
	s_waitcnt lgkmcnt(1)
	v_lshrrev_b32_e32 v36, 16, v21
	v_fma_f16 v19, v6, v20, v19
	v_mul_f16_sdwa v20, v6, v20 dst_sel:DWORD dst_unused:UNUSED_PAD src0_sel:WORD_1 src1_sel:DWORD
	v_fma_f16 v6, v6, v34, -v20
	v_mul_f16_sdwa v20, v7, v36 dst_sel:DWORD dst_unused:UNUSED_PAD src0_sel:WORD_1 src1_sel:DWORD
	v_lshrrev_b32_e32 v37, 16, v22
	v_fma_f16 v20, v7, v21, v20
	v_mul_f16_sdwa v21, v7, v21 dst_sel:DWORD dst_unused:UNUSED_PAD src0_sel:WORD_1 src1_sel:DWORD
	ds_read_b32 v35, v38 offset:816
	v_fma_f16 v7, v7, v36, -v21
	v_mul_f16_sdwa v21, v8, v37 dst_sel:DWORD dst_unused:UNUSED_PAD src0_sel:WORD_1 src1_sel:DWORD
	s_waitcnt lgkmcnt(1)
	v_lshrrev_b32_e32 v38, 16, v23
	v_fma_f16 v21, v8, v22, v21
	v_mul_f16_sdwa v22, v8, v22 dst_sel:DWORD dst_unused:UNUSED_PAD src0_sel:WORD_1 src1_sel:DWORD
	v_fma_f16 v8, v8, v37, -v22
	v_mul_f16_sdwa v22, v9, v38 dst_sel:DWORD dst_unused:UNUSED_PAD src0_sel:WORD_1 src1_sel:DWORD
	v_lshrrev_b32_e32 v39, 16, v24
	v_fma_f16 v22, v9, v23, v22
	v_mul_f16_sdwa v23, v9, v23 dst_sel:DWORD dst_unused:UNUSED_PAD src0_sel:WORD_1 src1_sel:DWORD
	v_fma_f16 v9, v9, v38, -v23
	v_mul_f16_sdwa v23, v10, v39 dst_sel:DWORD dst_unused:UNUSED_PAD src0_sel:WORD_1 src1_sel:DWORD
	s_waitcnt lgkmcnt(0)
	v_lshrrev_b32_e32 v40, 16, v35
	v_fma_f16 v23, v10, v24, v23
	v_mul_f16_sdwa v24, v10, v24 dst_sel:DWORD dst_unused:UNUSED_PAD src0_sel:WORD_1 src1_sel:DWORD
	v_fma_f16 v10, v10, v39, -v24
	v_mul_f16_sdwa v24, v11, v40 dst_sel:DWORD dst_unused:UNUSED_PAD src0_sel:WORD_1 src1_sel:DWORD
	v_mul_f16_sdwa v25, v11, v35 dst_sel:DWORD dst_unused:UNUSED_PAD src0_sel:WORD_1 src1_sel:DWORD
	v_fma_f16 v24, v11, v35, v24
	v_fma_f16 v11, v11, v40, -v25
	v_add_f16_e32 v25, v41, v13
	v_add_f16_sdwa v26, v0, v13 dst_sel:DWORD dst_unused:UNUSED_PAD src0_sel:DWORD src1_sel:WORD_1
	v_add_f16_e32 v25, v25, v14
	v_add_f16_e32 v26, v26, v1
	;; [unrolled: 1-line block ×21, first 2 shown]
	v_add_f16_sdwa v26, v26, v11 dst_sel:WORD_1 dst_unused:UNUSED_PAD src0_sel:DWORD src1_sel:DWORD
	v_add_f16_e32 v27, v0, v11
	v_sub_f16_e32 v0, v0, v11
	v_or_b32_e32 v25, v26, v25
	v_add_f16_e32 v26, v41, v24
	v_sub_f16_e32 v24, v41, v24
	s_mov_b32 s14, 0xb770
	v_mul_f16_e32 v11, 0xb770, v0
	s_movk_i32 s15, 0x3b15
	v_mul_f16_e32 v32, 0x3b15, v27
	s_movk_i32 s16, 0x3770
	s_mov_b32 s3, 0xba95
	v_mul_f16_e32 v34, 0xba95, v0
	s_movk_i32 s4, 0x388b
	v_mul_f16_e32 v36, 0x388b, v27
	s_movk_i32 s5, 0x3a95
	;; [unrolled: 5-line block ×3, first 2 shown]
	s_mov_b32 s17, 0xbb7b
	v_mul_f16_e32 v42, 0xbb7b, v0
	s_mov_b32 s18, 0xb5ac
	v_mul_f16_e32 v44, 0xb5ac, v27
	s_movk_i32 s19, 0x3b7b
	s_mov_b32 s20, 0xb94e
	v_mul_f16_e32 v46, 0xb94e, v0
	s_mov_b32 s21, 0xb9fd
	v_mul_f16_e32 v48, 0xb9fd, v27
	s_movk_i32 s22, 0x394e
	s_mov_b32 s23, 0xb3a8
	v_mul_f16_e32 v0, 0xb3a8, v0
	s_mov_b32 s24, 0xbbc4
	v_mul_f16_e32 v27, 0xbbc4, v27
	s_movk_i32 s25, 0x33a8
	v_fma_f16 v28, v26, s15, v11
	v_fma_f16 v33, v24, s16, v32
	v_fma_f16 v11, v26, s15, -v11
	v_fma_f16 v32, v24, s14, v32
	v_fma_f16 v35, v26, s4, v34
	v_fma_f16 v37, v24, s5, v36
	v_fma_f16 v34, v26, s4, -v34
	v_fma_f16 v36, v24, s3, v36
	;; [unrolled: 4-line block ×6, first 2 shown]
	v_add_f16_e32 v26, v1, v10
	v_sub_f16_e32 v1, v1, v10
	v_add_f16_e32 v28, v28, v13
	v_add_f16_sdwa v33, v33, v13 dst_sel:DWORD dst_unused:UNUSED_PAD src0_sel:DWORD src1_sel:WORD_1
	v_add_f16_e32 v11, v11, v13
	v_add_f16_sdwa v32, v32, v13 dst_sel:DWORD dst_unused:UNUSED_PAD src0_sel:DWORD src1_sel:WORD_1
	;; [unrolled: 2-line block ×12, first 2 shown]
	v_add_f16_e32 v24, v14, v23
	v_mul_f16_e32 v10, 0xba95, v1
	v_sub_f16_e32 v14, v14, v23
	v_fma_f16 v23, v24, s4, v10
	v_mul_f16_e32 v27, 0x388b, v26
	v_fma_f16 v10, v24, s4, -v10
	v_add_f16_e32 v23, v23, v28
	v_fma_f16 v28, v14, s5, v27
	v_add_f16_e32 v10, v10, v11
	v_fma_f16 v11, v14, s3, v27
	v_mul_f16_e32 v27, 0xbb7b, v1
	v_add_f16_e32 v28, v28, v33
	v_add_f16_e32 v11, v11, v32
	v_fma_f16 v32, v24, s18, v27
	v_mul_f16_e32 v33, 0xb5ac, v26
	v_fma_f16 v27, v24, s18, -v27
	v_add_f16_e32 v32, v32, v35
	v_fma_f16 v35, v14, s19, v33
	v_add_f16_e32 v27, v27, v34
	v_fma_f16 v33, v14, s17, v33
	v_mul_f16_e32 v34, 0xb3a8, v1
	v_add_f16_e32 v35, v35, v37
	v_add_f16_e32 v33, v33, v36
	;; [unrolled: 10-line block ×4, first 2 shown]
	v_fma_f16 v44, v24, s1, v42
	v_mul_f16_e32 v45, 0x2fb7, v26
	v_fma_f16 v42, v24, s1, -v42
	v_mul_f16_e32 v1, 0x3770, v1
	v_add_f16_e32 v44, v44, v47
	v_fma_f16 v47, v14, s0, v45
	v_add_f16_e32 v42, v42, v46
	v_fma_f16 v45, v14, s2, v45
	v_fma_f16 v46, v24, s15, v1
	v_mul_f16_e32 v26, 0x3b15, v26
	v_fma_f16 v1, v24, s15, -v1
	v_add_f16_e32 v45, v45, v48
	v_fma_f16 v48, v14, s14, v26
	v_add_f16_e32 v0, v1, v0
	v_fma_f16 v1, v14, s16, v26
	v_add_f16_e32 v14, v2, v9
	v_sub_f16_e32 v2, v2, v9
	v_add_f16_e32 v1, v1, v13
	v_add_f16_e32 v13, v15, v22
	v_mul_f16_e32 v9, 0xbbf1, v2
	v_sub_f16_e32 v15, v15, v22
	v_fma_f16 v22, v13, s1, v9
	v_add_f16_e32 v22, v22, v23
	v_mul_f16_e32 v23, 0x2fb7, v14
	v_fma_f16 v9, v13, s1, -v9
	v_add_f16_e32 v9, v9, v10
	v_fma_f16 v10, v15, s0, v23
	v_add_f16_e32 v10, v10, v11
	v_mul_f16_e32 v11, 0xb3a8, v2
	v_fma_f16 v24, v15, s2, v23
	v_fma_f16 v23, v13, s24, v11
	v_fma_f16 v11, v13, s24, -v11
	v_mul_f16_e32 v26, 0xbbc4, v14
	v_add_f16_e32 v11, v11, v27
	v_mul_f16_e32 v27, 0x3b7b, v2
	v_add_f16_e32 v24, v24, v28
	v_add_f16_e32 v23, v23, v32
	v_fma_f16 v28, v15, s25, v26
	v_fma_f16 v26, v15, s23, v26
	;; [unrolled: 1-line block ×3, first 2 shown]
	v_fma_f16 v27, v13, s18, -v27
	v_add_f16_e32 v26, v26, v33
	v_mul_f16_e32 v33, 0xb5ac, v14
	v_add_f16_e32 v27, v27, v34
	v_mul_f16_e32 v34, 0x3770, v2
	v_add_f16_e32 v28, v28, v35
	v_add_f16_e32 v32, v32, v36
	v_fma_f16 v35, v15, s17, v33
	v_fma_f16 v33, v15, s19, v33
	;; [unrolled: 1-line block ×3, first 2 shown]
	v_fma_f16 v34, v13, s15, -v34
	v_add_f16_e32 v33, v33, v37
	v_mul_f16_e32 v37, 0x3b15, v14
	v_add_f16_e32 v34, v34, v38
	v_mul_f16_e32 v38, 0xba95, v2
	v_add_f16_e32 v35, v35, v39
	v_add_f16_e32 v36, v36, v40
	v_fma_f16 v39, v15, s14, v37
	v_fma_f16 v37, v15, s16, v37
	;; [unrolled: 1-line block ×3, first 2 shown]
	v_fma_f16 v38, v13, s4, -v38
	v_mul_f16_e32 v2, 0xb94e, v2
	v_add_f16_e32 v37, v37, v41
	v_mul_f16_e32 v41, 0x388b, v14
	v_add_f16_e32 v38, v38, v42
	v_fma_f16 v42, v13, s21, v2
	v_mul_f16_e32 v14, 0xb9fd, v14
	v_fma_f16 v2, v13, s21, -v2
	v_add_f16_e32 v0, v2, v0
	v_fma_f16 v2, v15, s20, v14
	v_add_f16_e32 v13, v3, v8
	v_sub_f16_e32 v3, v3, v8
	v_add_f16_e32 v1, v2, v1
	v_add_f16_e32 v2, v16, v21
	v_mul_f16_e32 v8, 0xbb7b, v3
	v_add_f16_e32 v39, v39, v43
	v_add_f16_e32 v40, v40, v44
	v_fma_f16 v43, v15, s5, v41
	v_fma_f16 v41, v15, s3, v41
	;; [unrolled: 1-line block ×3, first 2 shown]
	v_sub_f16_e32 v14, v16, v21
	v_fma_f16 v15, v2, s18, v8
	v_mul_f16_e32 v16, 0xb5ac, v13
	v_fma_f16 v8, v2, s18, -v8
	v_add_f16_e32 v8, v8, v9
	v_fma_f16 v9, v14, s17, v16
	v_add_f16_e32 v9, v9, v10
	v_mul_f16_e32 v10, 0x394e, v3
	v_add_f16_e32 v15, v15, v22
	v_fma_f16 v21, v14, s19, v16
	v_fma_f16 v16, v2, s21, v10
	v_mul_f16_e32 v22, 0xb9fd, v13
	v_fma_f16 v10, v2, s21, -v10
	v_add_f16_e32 v16, v16, v23
	v_fma_f16 v23, v14, s20, v22
	v_add_f16_e32 v10, v10, v11
	v_fma_f16 v11, v14, s22, v22
	v_mul_f16_e32 v22, 0x3770, v3
	v_add_f16_e32 v21, v21, v24
	v_fma_f16 v24, v2, s15, v22
	v_fma_f16 v22, v2, s15, -v22
	v_add_f16_e32 v11, v11, v26
	v_mul_f16_e32 v26, 0x3b15, v13
	v_add_f16_e32 v22, v22, v27
	v_mul_f16_e32 v27, 0xbbf1, v3
	v_add_f16_e32 v23, v23, v28
	v_add_f16_e32 v24, v24, v32
	v_fma_f16 v28, v14, s14, v26
	v_fma_f16 v26, v14, s16, v26
	;; [unrolled: 1-line block ×3, first 2 shown]
	v_fma_f16 v27, v2, s1, -v27
	v_add_f16_e32 v26, v26, v33
	v_mul_f16_e32 v33, 0x2fb7, v13
	v_add_f16_e32 v27, v27, v34
	v_mul_f16_e32 v34, 0x33a8, v3
	v_add_f16_e32 v28, v28, v35
	v_add_f16_e32 v32, v32, v36
	v_fma_f16 v35, v14, s2, v33
	v_fma_f16 v33, v14, s0, v33
	;; [unrolled: 1-line block ×3, first 2 shown]
	v_fma_f16 v34, v2, s24, -v34
	v_mul_f16_e32 v3, 0x3a95, v3
	v_add_f16_e32 v33, v33, v37
	v_mul_f16_e32 v37, 0xbbc4, v13
	v_add_f16_e32 v34, v34, v38
	v_fma_f16 v38, v2, s4, v3
	v_mul_f16_e32 v13, 0x388b, v13
	v_fma_f16 v2, v2, s4, -v3
	v_add_f16_e32 v0, v2, v0
	v_fma_f16 v2, v14, s5, v13
	v_add_f16_e32 v3, v4, v7
	v_sub_f16_e32 v4, v4, v7
	v_add_f16_e32 v1, v2, v1
	v_add_f16_e32 v2, v17, v20
	v_mul_f16_e32 v7, 0xb94e, v4
	v_add_f16_e32 v35, v35, v39
	v_add_f16_e32 v36, v36, v40
	v_fma_f16 v39, v14, s23, v37
	v_fma_f16 v37, v14, s25, v37
	;; [unrolled: 1-line block ×4, first 2 shown]
	v_sub_f16_e32 v13, v17, v20
	v_add_f16_e32 v14, v14, v15
	v_mul_f16_e32 v15, 0xb9fd, v3
	v_fma_f16 v7, v2, s21, -v7
	v_add_f16_e32 v7, v7, v8
	v_fma_f16 v8, v13, s20, v15
	v_add_f16_e32 v8, v8, v9
	v_mul_f16_e32 v9, 0x3bf1, v4
	v_fma_f16 v17, v13, s22, v15
	v_fma_f16 v15, v2, s1, v9
	v_add_f16_e32 v15, v15, v16
	v_mul_f16_e32 v16, 0x2fb7, v3
	v_fma_f16 v9, v2, s1, -v9
	v_add_f16_e32 v9, v9, v10
	v_fma_f16 v10, v13, s2, v16
	v_add_f16_e32 v10, v10, v11
	v_mul_f16_e32 v11, 0xba95, v4
	v_fma_f16 v20, v13, s0, v16
	v_fma_f16 v16, v2, s4, v11
	v_fma_f16 v11, v2, s4, -v11
	v_add_f16_e32 v17, v17, v21
	v_mul_f16_e32 v21, 0x388b, v3
	v_add_f16_e32 v11, v11, v22
	v_mul_f16_e32 v22, 0x33a8, v4
	v_add_f16_e32 v20, v20, v23
	v_add_f16_e32 v16, v16, v24
	v_fma_f16 v23, v13, s5, v21
	v_fma_f16 v21, v13, s3, v21
	;; [unrolled: 1-line block ×3, first 2 shown]
	v_fma_f16 v22, v2, s24, -v22
	v_add_f16_e32 v21, v21, v26
	v_mul_f16_e32 v26, 0xbbc4, v3
	v_add_f16_e32 v22, v22, v27
	v_mul_f16_e32 v27, 0x3770, v4
	v_add_f16_e32 v23, v23, v28
	v_add_f16_e32 v24, v24, v32
	v_fma_f16 v28, v13, s23, v26
	v_fma_f16 v26, v13, s25, v26
	;; [unrolled: 1-line block ×3, first 2 shown]
	v_fma_f16 v27, v2, s15, -v27
	v_mul_f16_e32 v4, 0xbb7b, v4
	v_add_f16_e32 v26, v26, v33
	v_mul_f16_e32 v33, 0x3b15, v3
	v_add_f16_e32 v27, v27, v34
	v_fma_f16 v34, v2, s18, v4
	v_mul_f16_e32 v3, 0xb5ac, v3
	v_fma_f16 v2, v2, s18, -v4
	v_add_f16_e32 v32, v32, v36
	v_fma_f16 v36, v13, s19, v3
	v_add_f16_e32 v0, v2, v0
	v_fma_f16 v2, v13, s17, v3
	v_add_f16_e32 v3, v5, v6
	v_sub_f16_e32 v5, v5, v6
	v_add_f16_e32 v1, v2, v1
	v_add_f16_e32 v2, v18, v19
	v_mul_f16_e32 v6, 0xb3a8, v5
	v_add_f16_e32 v28, v28, v35
	v_fma_f16 v35, v13, s14, v33
	v_fma_f16 v33, v13, s16, v33
	;; [unrolled: 1-line block ×3, first 2 shown]
	v_sub_f16_e32 v4, v18, v19
	v_add_f16_e32 v13, v13, v14
	v_mul_f16_e32 v14, 0xbbc4, v3
	v_fma_f16 v6, v2, s24, -v6
	v_add_f16_e32 v6, v6, v7
	v_fma_f16 v7, v4, s23, v14
	v_add_f16_e32 v7, v7, v8
	v_mul_f16_e32 v8, 0x3770, v5
	v_fma_f16 v18, v4, s25, v14
	v_fma_f16 v14, v2, s15, v8
	v_add_f16_e32 v14, v14, v15
	v_mul_f16_e32 v15, 0x3b15, v3
	v_fma_f16 v8, v2, s15, -v8
	v_add_f16_e32 v8, v8, v9
	v_fma_f16 v9, v4, s16, v15
	v_add_f16_e32 v9, v9, v10
	v_mul_f16_e32 v10, 0xb94e, v5
	v_add_f16_e32 v17, v18, v17
	v_fma_f16 v18, v4, s14, v15
	v_fma_f16 v15, v2, s21, v10
	v_add_f16_e32 v15, v15, v16
	v_mul_f16_e32 v16, 0xb9fd, v3
	v_fma_f16 v10, v2, s21, -v10
	v_fma_f16 v19, v4, s22, v16
	v_add_f16_e32 v10, v10, v11
	v_fma_f16 v11, v4, s20, v16
	v_mul_f16_e32 v16, 0x3a95, v5
	v_add_f16_e32 v18, v18, v20
	v_fma_f16 v20, v2, s4, v16
	v_fma_f16 v16, v2, s4, -v16
	v_add_f16_e32 v11, v11, v21
	v_mul_f16_e32 v21, 0x388b, v3
	v_add_f16_e32 v16, v16, v22
	v_mul_f16_e32 v22, 0xbb7b, v5
	v_add_f16_e32 v47, v47, v49
	v_add_f16_e32 v19, v19, v23
	;; [unrolled: 1-line block ×3, first 2 shown]
	v_fma_f16 v23, v4, s3, v21
	v_fma_f16 v21, v4, s5, v21
	;; [unrolled: 1-line block ×3, first 2 shown]
	v_fma_f16 v22, v2, s18, -v22
	v_mul_f16_e32 v5, 0x3bf1, v5
	v_add_f16_e32 v46, v46, v50
	v_add_f16_e32 v48, v48, v51
	;; [unrolled: 1-line block ×4, first 2 shown]
	v_mul_f16_e32 v26, 0xb5ac, v3
	v_add_f16_e32 v22, v22, v27
	v_fma_f16 v27, v2, s1, v5
	v_mul_f16_e32 v3, 0x2fb7, v3
	v_fma_f16 v2, v2, s1, -v5
	v_add_f16_e32 v42, v42, v46
	v_add_f16_e32 v44, v44, v48
	;; [unrolled: 1-line block ×4, first 2 shown]
	v_fma_f16 v2, v4, s2, v3
	v_add_f16_e32 v41, v41, v45
	v_add_f16_e32 v38, v38, v42
	;; [unrolled: 1-line block ×5, first 2 shown]
	v_fma_f16 v28, v4, s19, v26
	v_add_f16_e32 v1, v2, v1
	v_pack_b32_f16 v2, v13, v17
	v_add_f16_e32 v37, v37, v41
	v_add_f16_e32 v34, v34, v38
	;; [unrolled: 1-line block ×5, first 2 shown]
	v_fma_f16 v32, v4, s0, v3
	ds_write2_b32 v31, v25, v2 offset1:17
	v_pack_b32_f16 v2, v14, v18
	v_pack_b32_f16 v3, v15, v19
	v_add_f16_e32 v33, v33, v37
	v_fma_f16 v26, v4, s17, v26
	v_add_f16_e32 v27, v27, v34
	v_add_f16_e32 v32, v32, v36
	ds_write2_b32 v31, v2, v3 offset0:34 offset1:51
	v_pack_b32_f16 v2, v20, v23
	v_pack_b32_f16 v3, v24, v28
	v_add_f16_e32 v26, v26, v33
	ds_write2_b32 v31, v2, v3 offset0:68 offset1:85
	v_pack_b32_f16 v2, v27, v32
	v_pack_b32_f16 v0, v0, v1
	ds_write2_b32 v31, v2, v0 offset0:102 offset1:119
	v_pack_b32_f16 v0, v22, v26
	v_pack_b32_f16 v1, v16, v21
	;; [unrolled: 3-line block ×3, first 2 shown]
	ds_write2_b32 v31, v0, v1 offset0:170 offset1:187
	v_pack_b32_f16 v0, v6, v7
	ds_write_b32 v31, v0 offset:816
	s_waitcnt lgkmcnt(0)
	s_barrier
	s_and_b64 exec, exec, vcc
	s_cbranch_execz .LBB0_15
; %bb.14:
	global_load_dword v8, v30, s[6:7]
	v_mad_u64_u32 v[1:2], s[0:1], s10, v12, 0
	v_mad_u64_u32 v[3:4], s[0:1], s8, v29, 0
	ds_read_b32 v9, v31
	s_mov_b32 s14, 0x1288b013
	v_mad_u64_u32 v[5:6], s[0:1], s11, v12, v[2:3]
	s_mov_b32 s15, 0x3f7288b0
	v_mov_b32_e32 v10, s13
	v_mad_u64_u32 v[6:7], s[0:1], s9, v29, v[4:5]
	s_waitcnt lgkmcnt(0)
	v_lshrrev_b32_e32 v7, 16, v9
	v_mov_b32_e32 v2, v5
	v_mov_b32_e32 v4, v6
	v_lshlrev_b64 v[1:2], 2, v[1:2]
	v_lshlrev_b64 v[3:4], 2, v[3:4]
	v_add_co_u32_e32 v1, vcc, s12, v1
	v_addc_co_u32_e32 v2, vcc, v10, v2, vcc
	s_movk_i32 s16, 0x1ff
	v_add_co_u32_e32 v3, vcc, v1, v3
	v_addc_co_u32_e32 v4, vcc, v2, v4, vcc
	s_movk_i32 s10, 0xffe
	v_mov_b32_e32 v0, 0x7c00
	s_movk_i32 s18, 0x40f
	s_mov_b32 s17, 0x8000
	s_mul_hi_u32 s12, s8, 52
	s_mul_i32 s11, s8, 52
	s_waitcnt vmcnt(0)
	v_mul_f16_sdwa v5, v7, v8 dst_sel:DWORD dst_unused:UNUSED_PAD src0_sel:DWORD src1_sel:WORD_1
	v_fma_f16 v5, v9, v8, v5
	v_mul_f16_sdwa v6, v9, v8 dst_sel:DWORD dst_unused:UNUSED_PAD src0_sel:DWORD src1_sel:WORD_1
	v_cvt_f32_f16_e32 v5, v5
	v_fma_f16 v6, v8, v7, -v6
	v_cvt_f32_f16_e32 v7, v6
	v_cvt_f64_f32_e32 v[5:6], v5
	v_cvt_f64_f32_e32 v[7:8], v7
	v_mul_f64 v[5:6], v[5:6], s[14:15]
	v_mul_f64 v[7:8], v[7:8], s[14:15]
	v_and_or_b32 v5, v6, s16, v5
	v_cmp_ne_u32_e32 vcc, 0, v5
	v_and_or_b32 v7, v8, s16, v7
	v_lshrrev_b32_e32 v9, 8, v6
	v_bfe_u32 v10, v6, 20, 11
	v_cndmask_b32_e64 v5, 0, 1, vcc
	v_cmp_ne_u32_e32 vcc, 0, v7
	v_lshrrev_b32_e32 v11, 8, v8
	v_bfe_u32 v12, v8, 20, 11
	v_sub_u32_e32 v13, 0x3f1, v10
	v_cndmask_b32_e64 v7, 0, 1, vcc
	v_and_or_b32 v5, v9, s10, v5
	v_sub_u32_e32 v14, 0x3f1, v12
	v_med3_i32 v9, v13, 0, 13
	v_and_or_b32 v7, v11, s10, v7
	v_or_b32_e32 v13, 0x1000, v5
	v_add_u32_e32 v10, 0xfffffc10, v10
	v_med3_i32 v11, v14, 0, 13
	v_cmp_ne_u32_e32 vcc, 0, v5
	v_or_b32_e32 v15, 0x1000, v7
	v_lshrrev_b32_e32 v17, v9, v13
	v_add_u32_e32 v12, 0xfffffc10, v12
	v_lshl_or_b32 v14, v10, 12, v5
	v_cndmask_b32_e64 v5, 0, 1, vcc
	v_cmp_ne_u32_e32 vcc, 0, v7
	v_lshrrev_b32_e32 v18, v11, v15
	v_lshlrev_b32_e32 v9, v9, v17
	v_lshl_or_b32 v16, v12, 12, v7
	v_cndmask_b32_e64 v7, 0, 1, vcc
	v_lshlrev_b32_e32 v11, v11, v18
	v_cmp_ne_u32_e32 vcc, v9, v13
	v_cndmask_b32_e64 v9, 0, 1, vcc
	v_cmp_ne_u32_e32 vcc, v11, v15
	v_cndmask_b32_e64 v11, 0, 1, vcc
	v_or_b32_e32 v9, v17, v9
	v_cmp_gt_i32_e32 vcc, 1, v10
	v_cndmask_b32_e32 v9, v14, v9, vcc
	v_or_b32_e32 v11, v18, v11
	v_cmp_gt_i32_e32 vcc, 1, v12
	v_and_b32_e32 v13, 7, v9
	v_cndmask_b32_e32 v11, v16, v11, vcc
	v_cmp_lt_i32_e32 vcc, 5, v13
	v_cmp_eq_u32_e64 s[0:1], 3, v13
	v_lshrrev_b32_e32 v9, 2, v9
	v_and_b32_e32 v14, 7, v11
	s_or_b64 vcc, s[0:1], vcc
	v_cmp_lt_i32_e64 s[2:3], 5, v14
	v_cmp_eq_u32_e64 s[4:5], 3, v14
	v_addc_co_u32_e32 v9, vcc, 0, v9, vcc
	v_lshrrev_b32_e32 v11, 2, v11
	s_or_b64 vcc, s[4:5], s[2:3]
	v_addc_co_u32_e32 v11, vcc, 0, v11, vcc
	v_cmp_gt_i32_e32 vcc, 31, v10
	v_cndmask_b32_e32 v9, v0, v9, vcc
	v_cmp_gt_i32_e32 vcc, 31, v12
	v_lshl_or_b32 v5, v5, 9, v0
	v_cndmask_b32_e32 v11, v0, v11, vcc
	v_cmp_eq_u32_e32 vcc, s18, v10
	v_lshrrev_b32_e32 v6, 16, v6
	v_lshl_or_b32 v7, v7, 9, v0
	v_cndmask_b32_e32 v5, v9, v5, vcc
	v_cmp_eq_u32_e32 vcc, s18, v12
	v_lshrrev_b32_e32 v8, 16, v8
	v_cndmask_b32_e32 v7, v11, v7, vcc
	v_and_or_b32 v5, v6, s17, v5
	v_and_or_b32 v6, v8, s17, v7
	v_and_b32_e32 v5, 0xffff, v5
	v_lshl_or_b32 v5, v6, 16, v5
	global_store_dword v[3:4], v5, off
	global_load_dword v7, v30, s[6:7] offset:52
	ds_read2_b32 v[5:6], v31 offset0:13 offset1:26
	s_mul_i32 s0, s9, 52
	s_add_i32 s12, s12, s0
	v_add_co_u32_e32 v3, vcc, s11, v3
	s_waitcnt lgkmcnt(0)
	v_lshrrev_b32_e32 v8, 16, v5
	s_waitcnt vmcnt(0)
	v_mul_f16_sdwa v9, v8, v7 dst_sel:DWORD dst_unused:UNUSED_PAD src0_sel:DWORD src1_sel:WORD_1
	v_fma_f16 v9, v5, v7, v9
	v_mul_f16_sdwa v5, v5, v7 dst_sel:DWORD dst_unused:UNUSED_PAD src0_sel:DWORD src1_sel:WORD_1
	v_cvt_f32_f16_e32 v9, v9
	v_fma_f16 v5, v7, v8, -v5
	v_cvt_f32_f16_e32 v5, v5
	v_cvt_f64_f32_e32 v[7:8], v9
	v_cvt_f64_f32_e32 v[9:10], v5
	v_mov_b32_e32 v5, s12
	v_mul_f64 v[7:8], v[7:8], s[14:15]
	v_addc_co_u32_e32 v4, vcc, v4, v5, vcc
	v_mul_f64 v[9:10], v[9:10], s[14:15]
	v_and_or_b32 v5, v8, s16, v7
	v_cmp_ne_u32_e32 vcc, 0, v5
	v_lshrrev_b32_e32 v7, 8, v8
	v_and_or_b32 v9, v10, s16, v9
	v_bfe_u32 v11, v8, 20, 11
	v_cndmask_b32_e64 v5, 0, 1, vcc
	v_cmp_ne_u32_e32 vcc, 0, v9
	v_lshrrev_b32_e32 v12, 8, v10
	v_bfe_u32 v13, v10, 20, 11
	v_sub_u32_e32 v14, 0x3f1, v11
	v_cndmask_b32_e64 v9, 0, 1, vcc
	v_and_or_b32 v5, v7, s10, v5
	v_sub_u32_e32 v15, 0x3f1, v13
	v_med3_i32 v7, v14, 0, 13
	v_and_or_b32 v9, v12, s10, v9
	v_or_b32_e32 v14, 0x1000, v5
	v_add_u32_e32 v11, 0xfffffc10, v11
	v_med3_i32 v12, v15, 0, 13
	v_cmp_ne_u32_e32 vcc, 0, v5
	v_or_b32_e32 v16, 0x1000, v9
	v_lshrrev_b32_e32 v18, v7, v14
	v_add_u32_e32 v13, 0xfffffc10, v13
	v_lshl_or_b32 v15, v11, 12, v5
	v_cndmask_b32_e64 v5, 0, 1, vcc
	v_cmp_ne_u32_e32 vcc, 0, v9
	v_lshrrev_b32_e32 v19, v12, v16
	v_lshlrev_b32_e32 v7, v7, v18
	v_lshl_or_b32 v17, v13, 12, v9
	v_cndmask_b32_e64 v9, 0, 1, vcc
	v_lshlrev_b32_e32 v12, v12, v19
	v_cmp_ne_u32_e32 vcc, v7, v14
	v_cndmask_b32_e64 v7, 0, 1, vcc
	v_cmp_ne_u32_e32 vcc, v12, v16
	v_cndmask_b32_e64 v12, 0, 1, vcc
	v_or_b32_e32 v7, v18, v7
	v_cmp_gt_i32_e32 vcc, 1, v11
	v_cndmask_b32_e32 v7, v15, v7, vcc
	v_or_b32_e32 v12, v19, v12
	v_cmp_gt_i32_e32 vcc, 1, v13
	v_and_b32_e32 v14, 7, v7
	v_cndmask_b32_e32 v12, v17, v12, vcc
	v_cmp_lt_i32_e32 vcc, 5, v14
	v_cmp_eq_u32_e64 s[0:1], 3, v14
	v_lshrrev_b32_e32 v7, 2, v7
	v_and_b32_e32 v15, 7, v12
	s_or_b64 vcc, s[0:1], vcc
	v_cmp_lt_i32_e64 s[2:3], 5, v15
	v_cmp_eq_u32_e64 s[4:5], 3, v15
	v_addc_co_u32_e32 v7, vcc, 0, v7, vcc
	v_lshrrev_b32_e32 v12, 2, v12
	s_or_b64 vcc, s[4:5], s[2:3]
	v_addc_co_u32_e32 v12, vcc, 0, v12, vcc
	v_cmp_gt_i32_e32 vcc, 31, v11
	v_cndmask_b32_e32 v7, v0, v7, vcc
	v_cmp_gt_i32_e32 vcc, 31, v13
	v_lshl_or_b32 v5, v5, 9, v0
	v_cndmask_b32_e32 v12, v0, v12, vcc
	v_cmp_eq_u32_e32 vcc, s18, v11
	v_lshrrev_b32_e32 v8, 16, v8
	v_lshl_or_b32 v9, v9, 9, v0
	v_cndmask_b32_e32 v5, v7, v5, vcc
	v_cmp_eq_u32_e32 vcc, s18, v13
	v_lshrrev_b32_e32 v10, 16, v10
	v_cndmask_b32_e32 v7, v12, v9, vcc
	v_and_or_b32 v5, v8, s17, v5
	v_and_or_b32 v7, v10, s17, v7
	v_and_b32_e32 v5, 0xffff, v5
	v_lshl_or_b32 v5, v7, 16, v5
	global_store_dword v[3:4], v5, off
	global_load_dword v5, v30, s[6:7] offset:104
	v_lshrrev_b32_e32 v7, 16, v6
	v_mov_b32_e32 v9, s12
	v_add_co_u32_e32 v3, vcc, s11, v3
	v_addc_co_u32_e32 v4, vcc, v4, v9, vcc
	s_waitcnt vmcnt(0)
	v_mul_f16_sdwa v8, v7, v5 dst_sel:DWORD dst_unused:UNUSED_PAD src0_sel:DWORD src1_sel:WORD_1
	v_fma_f16 v8, v6, v5, v8
	v_mul_f16_sdwa v6, v6, v5 dst_sel:DWORD dst_unused:UNUSED_PAD src0_sel:DWORD src1_sel:WORD_1
	v_cvt_f32_f16_e32 v8, v8
	v_fma_f16 v5, v5, v7, -v6
	v_cvt_f32_f16_e32 v7, v5
	v_cvt_f64_f32_e32 v[5:6], v8
	v_cvt_f64_f32_e32 v[7:8], v7
	v_mul_f64 v[5:6], v[5:6], s[14:15]
	v_mul_f64 v[7:8], v[7:8], s[14:15]
	v_and_or_b32 v5, v6, s16, v5
	v_cmp_ne_u32_e32 vcc, 0, v5
	v_and_or_b32 v7, v8, s16, v7
	v_lshrrev_b32_e32 v9, 8, v6
	v_bfe_u32 v10, v6, 20, 11
	v_cndmask_b32_e64 v5, 0, 1, vcc
	v_cmp_ne_u32_e32 vcc, 0, v7
	v_lshrrev_b32_e32 v11, 8, v8
	v_bfe_u32 v12, v8, 20, 11
	v_sub_u32_e32 v13, 0x3f1, v10
	v_cndmask_b32_e64 v7, 0, 1, vcc
	v_and_or_b32 v5, v9, s10, v5
	v_sub_u32_e32 v14, 0x3f1, v12
	v_med3_i32 v9, v13, 0, 13
	v_and_or_b32 v7, v11, s10, v7
	v_or_b32_e32 v13, 0x1000, v5
	v_add_u32_e32 v10, 0xfffffc10, v10
	v_med3_i32 v11, v14, 0, 13
	v_cmp_ne_u32_e32 vcc, 0, v5
	v_or_b32_e32 v15, 0x1000, v7
	v_lshrrev_b32_e32 v17, v9, v13
	v_add_u32_e32 v12, 0xfffffc10, v12
	v_lshl_or_b32 v14, v10, 12, v5
	v_cndmask_b32_e64 v5, 0, 1, vcc
	v_cmp_ne_u32_e32 vcc, 0, v7
	v_lshrrev_b32_e32 v18, v11, v15
	v_lshlrev_b32_e32 v9, v9, v17
	v_lshl_or_b32 v16, v12, 12, v7
	v_cndmask_b32_e64 v7, 0, 1, vcc
	v_lshlrev_b32_e32 v11, v11, v18
	v_cmp_ne_u32_e32 vcc, v9, v13
	v_cndmask_b32_e64 v9, 0, 1, vcc
	v_cmp_ne_u32_e32 vcc, v11, v15
	v_cndmask_b32_e64 v11, 0, 1, vcc
	v_or_b32_e32 v9, v17, v9
	v_cmp_gt_i32_e32 vcc, 1, v10
	v_cndmask_b32_e32 v9, v14, v9, vcc
	v_or_b32_e32 v11, v18, v11
	v_cmp_gt_i32_e32 vcc, 1, v12
	v_and_b32_e32 v13, 7, v9
	v_cndmask_b32_e32 v11, v16, v11, vcc
	v_cmp_lt_i32_e32 vcc, 5, v13
	v_cmp_eq_u32_e64 s[0:1], 3, v13
	v_lshrrev_b32_e32 v9, 2, v9
	v_and_b32_e32 v14, 7, v11
	s_or_b64 vcc, s[0:1], vcc
	v_cmp_lt_i32_e64 s[2:3], 5, v14
	v_cmp_eq_u32_e64 s[4:5], 3, v14
	v_addc_co_u32_e32 v9, vcc, 0, v9, vcc
	v_lshrrev_b32_e32 v11, 2, v11
	s_or_b64 vcc, s[4:5], s[2:3]
	v_addc_co_u32_e32 v11, vcc, 0, v11, vcc
	v_cmp_gt_i32_e32 vcc, 31, v10
	v_cndmask_b32_e32 v9, v0, v9, vcc
	v_cmp_gt_i32_e32 vcc, 31, v12
	v_lshl_or_b32 v5, v5, 9, v0
	v_cndmask_b32_e32 v11, v0, v11, vcc
	v_cmp_eq_u32_e32 vcc, s18, v10
	v_lshrrev_b32_e32 v6, 16, v6
	v_lshl_or_b32 v7, v7, 9, v0
	v_cndmask_b32_e32 v5, v9, v5, vcc
	v_cmp_eq_u32_e32 vcc, s18, v12
	v_lshrrev_b32_e32 v8, 16, v8
	v_cndmask_b32_e32 v7, v11, v7, vcc
	v_and_or_b32 v5, v6, s17, v5
	v_and_or_b32 v6, v8, s17, v7
	v_and_b32_e32 v5, 0xffff, v5
	v_lshl_or_b32 v5, v6, 16, v5
	global_store_dword v[3:4], v5, off
	global_load_dword v7, v30, s[6:7] offset:156
	ds_read2_b32 v[5:6], v31 offset0:39 offset1:52
	v_add_co_u32_e32 v3, vcc, s11, v3
	s_waitcnt lgkmcnt(0)
	v_lshrrev_b32_e32 v8, 16, v5
	s_waitcnt vmcnt(0)
	v_mul_f16_sdwa v9, v8, v7 dst_sel:DWORD dst_unused:UNUSED_PAD src0_sel:DWORD src1_sel:WORD_1
	v_fma_f16 v9, v5, v7, v9
	v_mul_f16_sdwa v5, v5, v7 dst_sel:DWORD dst_unused:UNUSED_PAD src0_sel:DWORD src1_sel:WORD_1
	v_cvt_f32_f16_e32 v9, v9
	v_fma_f16 v5, v7, v8, -v5
	v_cvt_f32_f16_e32 v5, v5
	v_cvt_f64_f32_e32 v[7:8], v9
	v_cvt_f64_f32_e32 v[9:10], v5
	v_mov_b32_e32 v5, s12
	v_mul_f64 v[7:8], v[7:8], s[14:15]
	v_addc_co_u32_e32 v4, vcc, v4, v5, vcc
	v_mul_f64 v[9:10], v[9:10], s[14:15]
	v_and_or_b32 v5, v8, s16, v7
	v_cmp_ne_u32_e32 vcc, 0, v5
	v_lshrrev_b32_e32 v7, 8, v8
	v_and_or_b32 v9, v10, s16, v9
	v_bfe_u32 v11, v8, 20, 11
	v_cndmask_b32_e64 v5, 0, 1, vcc
	v_cmp_ne_u32_e32 vcc, 0, v9
	v_lshrrev_b32_e32 v12, 8, v10
	v_bfe_u32 v13, v10, 20, 11
	v_sub_u32_e32 v14, 0x3f1, v11
	v_cndmask_b32_e64 v9, 0, 1, vcc
	v_and_or_b32 v5, v7, s10, v5
	v_sub_u32_e32 v15, 0x3f1, v13
	v_med3_i32 v7, v14, 0, 13
	v_and_or_b32 v9, v12, s10, v9
	v_or_b32_e32 v14, 0x1000, v5
	v_add_u32_e32 v11, 0xfffffc10, v11
	v_med3_i32 v12, v15, 0, 13
	v_cmp_ne_u32_e32 vcc, 0, v5
	v_or_b32_e32 v16, 0x1000, v9
	v_lshrrev_b32_e32 v18, v7, v14
	v_add_u32_e32 v13, 0xfffffc10, v13
	v_lshl_or_b32 v15, v11, 12, v5
	v_cndmask_b32_e64 v5, 0, 1, vcc
	v_cmp_ne_u32_e32 vcc, 0, v9
	v_lshrrev_b32_e32 v19, v12, v16
	v_lshlrev_b32_e32 v7, v7, v18
	v_lshl_or_b32 v17, v13, 12, v9
	v_cndmask_b32_e64 v9, 0, 1, vcc
	v_lshlrev_b32_e32 v12, v12, v19
	v_cmp_ne_u32_e32 vcc, v7, v14
	v_cndmask_b32_e64 v7, 0, 1, vcc
	v_cmp_ne_u32_e32 vcc, v12, v16
	v_cndmask_b32_e64 v12, 0, 1, vcc
	v_or_b32_e32 v7, v18, v7
	v_cmp_gt_i32_e32 vcc, 1, v11
	v_cndmask_b32_e32 v7, v15, v7, vcc
	v_or_b32_e32 v12, v19, v12
	v_cmp_gt_i32_e32 vcc, 1, v13
	v_and_b32_e32 v14, 7, v7
	v_cndmask_b32_e32 v12, v17, v12, vcc
	v_cmp_lt_i32_e32 vcc, 5, v14
	v_cmp_eq_u32_e64 s[0:1], 3, v14
	v_lshrrev_b32_e32 v7, 2, v7
	v_and_b32_e32 v15, 7, v12
	s_or_b64 vcc, s[0:1], vcc
	v_cmp_lt_i32_e64 s[2:3], 5, v15
	v_cmp_eq_u32_e64 s[4:5], 3, v15
	v_addc_co_u32_e32 v7, vcc, 0, v7, vcc
	v_lshrrev_b32_e32 v12, 2, v12
	s_or_b64 vcc, s[4:5], s[2:3]
	v_addc_co_u32_e32 v12, vcc, 0, v12, vcc
	v_cmp_gt_i32_e32 vcc, 31, v11
	v_cndmask_b32_e32 v7, v0, v7, vcc
	v_cmp_gt_i32_e32 vcc, 31, v13
	v_lshl_or_b32 v5, v5, 9, v0
	v_cndmask_b32_e32 v12, v0, v12, vcc
	v_cmp_eq_u32_e32 vcc, s18, v11
	v_lshrrev_b32_e32 v8, 16, v8
	v_lshl_or_b32 v9, v9, 9, v0
	v_cndmask_b32_e32 v5, v7, v5, vcc
	v_cmp_eq_u32_e32 vcc, s18, v13
	v_lshrrev_b32_e32 v10, 16, v10
	v_cndmask_b32_e32 v7, v12, v9, vcc
	v_and_or_b32 v5, v8, s17, v5
	v_and_or_b32 v7, v10, s17, v7
	v_and_b32_e32 v5, 0xffff, v5
	v_lshl_or_b32 v5, v7, 16, v5
	global_store_dword v[3:4], v5, off
	global_load_dword v5, v30, s[6:7] offset:208
	v_lshrrev_b32_e32 v7, 16, v6
	v_mov_b32_e32 v9, s12
	v_add_co_u32_e32 v3, vcc, s11, v3
	v_addc_co_u32_e32 v4, vcc, v4, v9, vcc
	s_waitcnt vmcnt(0)
	v_mul_f16_sdwa v8, v7, v5 dst_sel:DWORD dst_unused:UNUSED_PAD src0_sel:DWORD src1_sel:WORD_1
	v_fma_f16 v8, v6, v5, v8
	v_mul_f16_sdwa v6, v6, v5 dst_sel:DWORD dst_unused:UNUSED_PAD src0_sel:DWORD src1_sel:WORD_1
	v_cvt_f32_f16_e32 v8, v8
	v_fma_f16 v5, v5, v7, -v6
	v_cvt_f32_f16_e32 v7, v5
	v_cvt_f64_f32_e32 v[5:6], v8
	v_cvt_f64_f32_e32 v[7:8], v7
	v_mul_f64 v[5:6], v[5:6], s[14:15]
	v_mul_f64 v[7:8], v[7:8], s[14:15]
	v_and_or_b32 v5, v6, s16, v5
	v_cmp_ne_u32_e32 vcc, 0, v5
	v_and_or_b32 v7, v8, s16, v7
	v_lshrrev_b32_e32 v9, 8, v6
	v_bfe_u32 v10, v6, 20, 11
	v_cndmask_b32_e64 v5, 0, 1, vcc
	v_cmp_ne_u32_e32 vcc, 0, v7
	v_lshrrev_b32_e32 v11, 8, v8
	v_bfe_u32 v12, v8, 20, 11
	v_sub_u32_e32 v13, 0x3f1, v10
	v_cndmask_b32_e64 v7, 0, 1, vcc
	v_and_or_b32 v5, v9, s10, v5
	v_sub_u32_e32 v14, 0x3f1, v12
	v_med3_i32 v9, v13, 0, 13
	v_and_or_b32 v7, v11, s10, v7
	v_or_b32_e32 v13, 0x1000, v5
	v_add_u32_e32 v10, 0xfffffc10, v10
	v_med3_i32 v11, v14, 0, 13
	v_cmp_ne_u32_e32 vcc, 0, v5
	v_or_b32_e32 v15, 0x1000, v7
	v_lshrrev_b32_e32 v17, v9, v13
	v_add_u32_e32 v12, 0xfffffc10, v12
	v_lshl_or_b32 v14, v10, 12, v5
	v_cndmask_b32_e64 v5, 0, 1, vcc
	v_cmp_ne_u32_e32 vcc, 0, v7
	v_lshrrev_b32_e32 v18, v11, v15
	v_lshlrev_b32_e32 v9, v9, v17
	v_lshl_or_b32 v16, v12, 12, v7
	v_cndmask_b32_e64 v7, 0, 1, vcc
	v_lshlrev_b32_e32 v11, v11, v18
	v_cmp_ne_u32_e32 vcc, v9, v13
	v_cndmask_b32_e64 v9, 0, 1, vcc
	v_cmp_ne_u32_e32 vcc, v11, v15
	v_cndmask_b32_e64 v11, 0, 1, vcc
	v_or_b32_e32 v9, v17, v9
	v_cmp_gt_i32_e32 vcc, 1, v10
	v_cndmask_b32_e32 v9, v14, v9, vcc
	v_or_b32_e32 v11, v18, v11
	v_cmp_gt_i32_e32 vcc, 1, v12
	v_and_b32_e32 v13, 7, v9
	v_cndmask_b32_e32 v11, v16, v11, vcc
	v_cmp_lt_i32_e32 vcc, 5, v13
	v_cmp_eq_u32_e64 s[0:1], 3, v13
	v_lshrrev_b32_e32 v9, 2, v9
	v_and_b32_e32 v14, 7, v11
	s_or_b64 vcc, s[0:1], vcc
	v_cmp_lt_i32_e64 s[2:3], 5, v14
	v_cmp_eq_u32_e64 s[4:5], 3, v14
	v_addc_co_u32_e32 v9, vcc, 0, v9, vcc
	v_lshrrev_b32_e32 v11, 2, v11
	s_or_b64 vcc, s[4:5], s[2:3]
	v_addc_co_u32_e32 v11, vcc, 0, v11, vcc
	v_cmp_gt_i32_e32 vcc, 31, v10
	v_cndmask_b32_e32 v9, v0, v9, vcc
	v_cmp_gt_i32_e32 vcc, 31, v12
	v_lshl_or_b32 v5, v5, 9, v0
	v_cndmask_b32_e32 v11, v0, v11, vcc
	v_cmp_eq_u32_e32 vcc, s18, v10
	v_lshrrev_b32_e32 v6, 16, v6
	v_lshl_or_b32 v7, v7, 9, v0
	v_cndmask_b32_e32 v5, v9, v5, vcc
	v_cmp_eq_u32_e32 vcc, s18, v12
	v_lshrrev_b32_e32 v8, 16, v8
	v_cndmask_b32_e32 v7, v11, v7, vcc
	v_and_or_b32 v5, v6, s17, v5
	v_and_or_b32 v6, v8, s17, v7
	v_and_b32_e32 v5, 0xffff, v5
	v_lshl_or_b32 v5, v6, 16, v5
	global_store_dword v[3:4], v5, off
	global_load_dword v7, v30, s[6:7] offset:260
	ds_read2_b32 v[5:6], v31 offset0:65 offset1:78
	v_add_co_u32_e32 v3, vcc, s11, v3
	s_waitcnt lgkmcnt(0)
	v_lshrrev_b32_e32 v8, 16, v5
	s_waitcnt vmcnt(0)
	v_mul_f16_sdwa v9, v8, v7 dst_sel:DWORD dst_unused:UNUSED_PAD src0_sel:DWORD src1_sel:WORD_1
	v_fma_f16 v9, v5, v7, v9
	v_mul_f16_sdwa v5, v5, v7 dst_sel:DWORD dst_unused:UNUSED_PAD src0_sel:DWORD src1_sel:WORD_1
	v_cvt_f32_f16_e32 v9, v9
	v_fma_f16 v5, v7, v8, -v5
	v_cvt_f32_f16_e32 v5, v5
	v_cvt_f64_f32_e32 v[7:8], v9
	v_cvt_f64_f32_e32 v[9:10], v5
	v_mov_b32_e32 v5, s12
	v_mul_f64 v[7:8], v[7:8], s[14:15]
	v_addc_co_u32_e32 v4, vcc, v4, v5, vcc
	v_mul_f64 v[9:10], v[9:10], s[14:15]
	v_and_or_b32 v5, v8, s16, v7
	v_cmp_ne_u32_e32 vcc, 0, v5
	v_lshrrev_b32_e32 v7, 8, v8
	v_and_or_b32 v9, v10, s16, v9
	v_bfe_u32 v11, v8, 20, 11
	v_cndmask_b32_e64 v5, 0, 1, vcc
	v_cmp_ne_u32_e32 vcc, 0, v9
	v_lshrrev_b32_e32 v12, 8, v10
	v_bfe_u32 v13, v10, 20, 11
	v_sub_u32_e32 v14, 0x3f1, v11
	v_cndmask_b32_e64 v9, 0, 1, vcc
	v_and_or_b32 v5, v7, s10, v5
	v_sub_u32_e32 v15, 0x3f1, v13
	v_med3_i32 v7, v14, 0, 13
	v_and_or_b32 v9, v12, s10, v9
	v_or_b32_e32 v14, 0x1000, v5
	v_add_u32_e32 v11, 0xfffffc10, v11
	v_med3_i32 v12, v15, 0, 13
	v_cmp_ne_u32_e32 vcc, 0, v5
	v_or_b32_e32 v16, 0x1000, v9
	v_lshrrev_b32_e32 v18, v7, v14
	v_add_u32_e32 v13, 0xfffffc10, v13
	v_lshl_or_b32 v15, v11, 12, v5
	v_cndmask_b32_e64 v5, 0, 1, vcc
	v_cmp_ne_u32_e32 vcc, 0, v9
	v_lshrrev_b32_e32 v19, v12, v16
	v_lshlrev_b32_e32 v7, v7, v18
	v_lshl_or_b32 v17, v13, 12, v9
	v_cndmask_b32_e64 v9, 0, 1, vcc
	v_lshlrev_b32_e32 v12, v12, v19
	v_cmp_ne_u32_e32 vcc, v7, v14
	v_cndmask_b32_e64 v7, 0, 1, vcc
	v_cmp_ne_u32_e32 vcc, v12, v16
	v_cndmask_b32_e64 v12, 0, 1, vcc
	v_or_b32_e32 v7, v18, v7
	v_cmp_gt_i32_e32 vcc, 1, v11
	v_cndmask_b32_e32 v7, v15, v7, vcc
	v_or_b32_e32 v12, v19, v12
	v_cmp_gt_i32_e32 vcc, 1, v13
	v_and_b32_e32 v14, 7, v7
	v_cndmask_b32_e32 v12, v17, v12, vcc
	v_cmp_lt_i32_e32 vcc, 5, v14
	v_cmp_eq_u32_e64 s[0:1], 3, v14
	v_lshrrev_b32_e32 v7, 2, v7
	v_and_b32_e32 v15, 7, v12
	s_or_b64 vcc, s[0:1], vcc
	v_cmp_lt_i32_e64 s[2:3], 5, v15
	v_cmp_eq_u32_e64 s[4:5], 3, v15
	v_addc_co_u32_e32 v7, vcc, 0, v7, vcc
	v_lshrrev_b32_e32 v12, 2, v12
	s_or_b64 vcc, s[4:5], s[2:3]
	v_addc_co_u32_e32 v12, vcc, 0, v12, vcc
	v_cmp_gt_i32_e32 vcc, 31, v11
	v_cndmask_b32_e32 v7, v0, v7, vcc
	v_cmp_gt_i32_e32 vcc, 31, v13
	v_lshl_or_b32 v5, v5, 9, v0
	v_cndmask_b32_e32 v12, v0, v12, vcc
	v_cmp_eq_u32_e32 vcc, s18, v11
	v_lshrrev_b32_e32 v8, 16, v8
	v_lshl_or_b32 v9, v9, 9, v0
	v_cndmask_b32_e32 v5, v7, v5, vcc
	v_cmp_eq_u32_e32 vcc, s18, v13
	v_lshrrev_b32_e32 v10, 16, v10
	v_cndmask_b32_e32 v7, v12, v9, vcc
	v_and_or_b32 v5, v8, s17, v5
	v_and_or_b32 v7, v10, s17, v7
	v_and_b32_e32 v5, 0xffff, v5
	v_lshl_or_b32 v5, v7, 16, v5
	global_store_dword v[3:4], v5, off
	global_load_dword v5, v30, s[6:7] offset:312
	v_lshrrev_b32_e32 v7, 16, v6
	v_mov_b32_e32 v9, s12
	v_add_co_u32_e32 v3, vcc, s11, v3
	v_addc_co_u32_e32 v4, vcc, v4, v9, vcc
	s_waitcnt vmcnt(0)
	v_mul_f16_sdwa v8, v7, v5 dst_sel:DWORD dst_unused:UNUSED_PAD src0_sel:DWORD src1_sel:WORD_1
	v_fma_f16 v8, v6, v5, v8
	v_mul_f16_sdwa v6, v6, v5 dst_sel:DWORD dst_unused:UNUSED_PAD src0_sel:DWORD src1_sel:WORD_1
	v_cvt_f32_f16_e32 v8, v8
	v_fma_f16 v5, v5, v7, -v6
	v_cvt_f32_f16_e32 v7, v5
	v_cvt_f64_f32_e32 v[5:6], v8
	v_cvt_f64_f32_e32 v[7:8], v7
	v_mul_f64 v[5:6], v[5:6], s[14:15]
	v_mul_f64 v[7:8], v[7:8], s[14:15]
	v_and_or_b32 v5, v6, s16, v5
	v_cmp_ne_u32_e32 vcc, 0, v5
	v_and_or_b32 v7, v8, s16, v7
	v_lshrrev_b32_e32 v9, 8, v6
	v_bfe_u32 v10, v6, 20, 11
	v_cndmask_b32_e64 v5, 0, 1, vcc
	v_cmp_ne_u32_e32 vcc, 0, v7
	v_lshrrev_b32_e32 v11, 8, v8
	v_bfe_u32 v12, v8, 20, 11
	v_sub_u32_e32 v13, 0x3f1, v10
	v_cndmask_b32_e64 v7, 0, 1, vcc
	v_and_or_b32 v5, v9, s10, v5
	v_sub_u32_e32 v14, 0x3f1, v12
	v_med3_i32 v9, v13, 0, 13
	v_and_or_b32 v7, v11, s10, v7
	v_or_b32_e32 v13, 0x1000, v5
	v_add_u32_e32 v10, 0xfffffc10, v10
	v_med3_i32 v11, v14, 0, 13
	v_cmp_ne_u32_e32 vcc, 0, v5
	v_or_b32_e32 v15, 0x1000, v7
	v_lshrrev_b32_e32 v17, v9, v13
	v_add_u32_e32 v12, 0xfffffc10, v12
	v_lshl_or_b32 v14, v10, 12, v5
	v_cndmask_b32_e64 v5, 0, 1, vcc
	v_cmp_ne_u32_e32 vcc, 0, v7
	v_lshrrev_b32_e32 v18, v11, v15
	v_lshlrev_b32_e32 v9, v9, v17
	v_lshl_or_b32 v16, v12, 12, v7
	v_cndmask_b32_e64 v7, 0, 1, vcc
	v_lshlrev_b32_e32 v11, v11, v18
	v_cmp_ne_u32_e32 vcc, v9, v13
	v_cndmask_b32_e64 v9, 0, 1, vcc
	v_cmp_ne_u32_e32 vcc, v11, v15
	v_cndmask_b32_e64 v11, 0, 1, vcc
	v_or_b32_e32 v9, v17, v9
	v_cmp_gt_i32_e32 vcc, 1, v10
	v_cndmask_b32_e32 v9, v14, v9, vcc
	v_or_b32_e32 v11, v18, v11
	v_cmp_gt_i32_e32 vcc, 1, v12
	v_and_b32_e32 v13, 7, v9
	v_cndmask_b32_e32 v11, v16, v11, vcc
	v_cmp_lt_i32_e32 vcc, 5, v13
	v_cmp_eq_u32_e64 s[0:1], 3, v13
	v_lshrrev_b32_e32 v9, 2, v9
	v_and_b32_e32 v14, 7, v11
	s_or_b64 vcc, s[0:1], vcc
	v_cmp_lt_i32_e64 s[2:3], 5, v14
	v_cmp_eq_u32_e64 s[4:5], 3, v14
	v_addc_co_u32_e32 v9, vcc, 0, v9, vcc
	v_lshrrev_b32_e32 v11, 2, v11
	s_or_b64 vcc, s[4:5], s[2:3]
	v_addc_co_u32_e32 v11, vcc, 0, v11, vcc
	v_cmp_gt_i32_e32 vcc, 31, v10
	v_cndmask_b32_e32 v9, v0, v9, vcc
	v_cmp_gt_i32_e32 vcc, 31, v12
	v_lshl_or_b32 v5, v5, 9, v0
	v_cndmask_b32_e32 v11, v0, v11, vcc
	v_cmp_eq_u32_e32 vcc, s18, v10
	v_lshrrev_b32_e32 v6, 16, v6
	v_lshl_or_b32 v7, v7, 9, v0
	v_cndmask_b32_e32 v5, v9, v5, vcc
	v_cmp_eq_u32_e32 vcc, s18, v12
	v_lshrrev_b32_e32 v8, 16, v8
	v_cndmask_b32_e32 v7, v11, v7, vcc
	v_and_or_b32 v5, v6, s17, v5
	v_and_or_b32 v6, v8, s17, v7
	v_and_b32_e32 v5, 0xffff, v5
	v_lshl_or_b32 v5, v6, 16, v5
	global_store_dword v[3:4], v5, off
	global_load_dword v7, v30, s[6:7] offset:364
	ds_read2_b32 v[5:6], v31 offset0:91 offset1:104
	v_add_co_u32_e32 v3, vcc, s11, v3
	s_waitcnt lgkmcnt(0)
	v_lshrrev_b32_e32 v8, 16, v5
	s_waitcnt vmcnt(0)
	v_mul_f16_sdwa v9, v8, v7 dst_sel:DWORD dst_unused:UNUSED_PAD src0_sel:DWORD src1_sel:WORD_1
	v_fma_f16 v9, v5, v7, v9
	v_mul_f16_sdwa v5, v5, v7 dst_sel:DWORD dst_unused:UNUSED_PAD src0_sel:DWORD src1_sel:WORD_1
	v_cvt_f32_f16_e32 v9, v9
	v_fma_f16 v5, v7, v8, -v5
	v_cvt_f32_f16_e32 v5, v5
	v_cvt_f64_f32_e32 v[7:8], v9
	v_cvt_f64_f32_e32 v[9:10], v5
	v_mov_b32_e32 v5, s12
	v_mul_f64 v[7:8], v[7:8], s[14:15]
	v_addc_co_u32_e32 v4, vcc, v4, v5, vcc
	v_mul_f64 v[9:10], v[9:10], s[14:15]
	v_and_or_b32 v5, v8, s16, v7
	v_cmp_ne_u32_e32 vcc, 0, v5
	v_lshrrev_b32_e32 v7, 8, v8
	v_and_or_b32 v9, v10, s16, v9
	v_bfe_u32 v11, v8, 20, 11
	v_cndmask_b32_e64 v5, 0, 1, vcc
	v_cmp_ne_u32_e32 vcc, 0, v9
	v_lshrrev_b32_e32 v12, 8, v10
	v_bfe_u32 v13, v10, 20, 11
	v_sub_u32_e32 v14, 0x3f1, v11
	v_cndmask_b32_e64 v9, 0, 1, vcc
	v_and_or_b32 v5, v7, s10, v5
	v_sub_u32_e32 v15, 0x3f1, v13
	v_med3_i32 v7, v14, 0, 13
	v_and_or_b32 v9, v12, s10, v9
	v_or_b32_e32 v14, 0x1000, v5
	v_add_u32_e32 v11, 0xfffffc10, v11
	v_med3_i32 v12, v15, 0, 13
	v_cmp_ne_u32_e32 vcc, 0, v5
	v_or_b32_e32 v16, 0x1000, v9
	v_lshrrev_b32_e32 v18, v7, v14
	v_add_u32_e32 v13, 0xfffffc10, v13
	v_lshl_or_b32 v15, v11, 12, v5
	v_cndmask_b32_e64 v5, 0, 1, vcc
	v_cmp_ne_u32_e32 vcc, 0, v9
	v_lshrrev_b32_e32 v19, v12, v16
	v_lshlrev_b32_e32 v7, v7, v18
	v_lshl_or_b32 v17, v13, 12, v9
	v_cndmask_b32_e64 v9, 0, 1, vcc
	v_lshlrev_b32_e32 v12, v12, v19
	v_cmp_ne_u32_e32 vcc, v7, v14
	v_cndmask_b32_e64 v7, 0, 1, vcc
	v_cmp_ne_u32_e32 vcc, v12, v16
	v_cndmask_b32_e64 v12, 0, 1, vcc
	v_or_b32_e32 v7, v18, v7
	v_cmp_gt_i32_e32 vcc, 1, v11
	v_cndmask_b32_e32 v7, v15, v7, vcc
	v_or_b32_e32 v12, v19, v12
	v_cmp_gt_i32_e32 vcc, 1, v13
	v_and_b32_e32 v14, 7, v7
	v_cndmask_b32_e32 v12, v17, v12, vcc
	v_cmp_lt_i32_e32 vcc, 5, v14
	v_cmp_eq_u32_e64 s[0:1], 3, v14
	v_lshrrev_b32_e32 v7, 2, v7
	v_and_b32_e32 v15, 7, v12
	s_or_b64 vcc, s[0:1], vcc
	v_cmp_lt_i32_e64 s[2:3], 5, v15
	v_cmp_eq_u32_e64 s[4:5], 3, v15
	v_addc_co_u32_e32 v7, vcc, 0, v7, vcc
	v_lshrrev_b32_e32 v12, 2, v12
	s_or_b64 vcc, s[4:5], s[2:3]
	v_addc_co_u32_e32 v12, vcc, 0, v12, vcc
	v_cmp_gt_i32_e32 vcc, 31, v11
	v_cndmask_b32_e32 v7, v0, v7, vcc
	v_cmp_gt_i32_e32 vcc, 31, v13
	v_lshl_or_b32 v5, v5, 9, v0
	v_cndmask_b32_e32 v12, v0, v12, vcc
	v_cmp_eq_u32_e32 vcc, s18, v11
	v_lshrrev_b32_e32 v8, 16, v8
	v_lshl_or_b32 v9, v9, 9, v0
	v_cndmask_b32_e32 v5, v7, v5, vcc
	v_cmp_eq_u32_e32 vcc, s18, v13
	v_lshrrev_b32_e32 v10, 16, v10
	v_cndmask_b32_e32 v7, v12, v9, vcc
	v_and_or_b32 v5, v8, s17, v5
	v_and_or_b32 v7, v10, s17, v7
	v_and_b32_e32 v5, 0xffff, v5
	v_lshl_or_b32 v5, v7, 16, v5
	global_store_dword v[3:4], v5, off
	global_load_dword v5, v30, s[6:7] offset:416
	v_lshrrev_b32_e32 v7, 16, v6
	v_mov_b32_e32 v9, s12
	v_add_co_u32_e32 v3, vcc, s11, v3
	v_addc_co_u32_e32 v4, vcc, v4, v9, vcc
	s_waitcnt vmcnt(0)
	v_mul_f16_sdwa v8, v7, v5 dst_sel:DWORD dst_unused:UNUSED_PAD src0_sel:DWORD src1_sel:WORD_1
	v_fma_f16 v8, v6, v5, v8
	v_mul_f16_sdwa v6, v6, v5 dst_sel:DWORD dst_unused:UNUSED_PAD src0_sel:DWORD src1_sel:WORD_1
	v_cvt_f32_f16_e32 v8, v8
	v_fma_f16 v5, v5, v7, -v6
	v_cvt_f32_f16_e32 v7, v5
	v_cvt_f64_f32_e32 v[5:6], v8
	v_cvt_f64_f32_e32 v[7:8], v7
	v_mul_f64 v[5:6], v[5:6], s[14:15]
	v_mul_f64 v[7:8], v[7:8], s[14:15]
	v_and_or_b32 v5, v6, s16, v5
	v_cmp_ne_u32_e32 vcc, 0, v5
	v_and_or_b32 v7, v8, s16, v7
	v_lshrrev_b32_e32 v9, 8, v6
	v_bfe_u32 v10, v6, 20, 11
	v_cndmask_b32_e64 v5, 0, 1, vcc
	v_cmp_ne_u32_e32 vcc, 0, v7
	v_lshrrev_b32_e32 v11, 8, v8
	v_bfe_u32 v12, v8, 20, 11
	v_sub_u32_e32 v13, 0x3f1, v10
	v_cndmask_b32_e64 v7, 0, 1, vcc
	v_and_or_b32 v5, v9, s10, v5
	v_sub_u32_e32 v14, 0x3f1, v12
	v_med3_i32 v9, v13, 0, 13
	v_and_or_b32 v7, v11, s10, v7
	v_or_b32_e32 v13, 0x1000, v5
	v_add_u32_e32 v10, 0xfffffc10, v10
	v_med3_i32 v11, v14, 0, 13
	v_cmp_ne_u32_e32 vcc, 0, v5
	v_or_b32_e32 v15, 0x1000, v7
	v_lshrrev_b32_e32 v17, v9, v13
	v_add_u32_e32 v12, 0xfffffc10, v12
	v_lshl_or_b32 v14, v10, 12, v5
	v_cndmask_b32_e64 v5, 0, 1, vcc
	v_cmp_ne_u32_e32 vcc, 0, v7
	v_lshrrev_b32_e32 v18, v11, v15
	v_lshlrev_b32_e32 v9, v9, v17
	v_lshl_or_b32 v16, v12, 12, v7
	v_cndmask_b32_e64 v7, 0, 1, vcc
	v_lshlrev_b32_e32 v11, v11, v18
	v_cmp_ne_u32_e32 vcc, v9, v13
	v_cndmask_b32_e64 v9, 0, 1, vcc
	v_cmp_ne_u32_e32 vcc, v11, v15
	v_cndmask_b32_e64 v11, 0, 1, vcc
	v_or_b32_e32 v9, v17, v9
	v_cmp_gt_i32_e32 vcc, 1, v10
	v_cndmask_b32_e32 v9, v14, v9, vcc
	v_or_b32_e32 v11, v18, v11
	v_cmp_gt_i32_e32 vcc, 1, v12
	v_and_b32_e32 v13, 7, v9
	v_cndmask_b32_e32 v11, v16, v11, vcc
	v_cmp_lt_i32_e32 vcc, 5, v13
	v_cmp_eq_u32_e64 s[0:1], 3, v13
	v_lshrrev_b32_e32 v9, 2, v9
	v_and_b32_e32 v14, 7, v11
	s_or_b64 vcc, s[0:1], vcc
	v_cmp_lt_i32_e64 s[2:3], 5, v14
	v_cmp_eq_u32_e64 s[4:5], 3, v14
	v_addc_co_u32_e32 v9, vcc, 0, v9, vcc
	v_lshrrev_b32_e32 v11, 2, v11
	s_or_b64 vcc, s[4:5], s[2:3]
	v_addc_co_u32_e32 v11, vcc, 0, v11, vcc
	v_cmp_gt_i32_e32 vcc, 31, v10
	v_cndmask_b32_e32 v9, v0, v9, vcc
	v_cmp_gt_i32_e32 vcc, 31, v12
	v_lshl_or_b32 v5, v5, 9, v0
	v_cndmask_b32_e32 v11, v0, v11, vcc
	v_cmp_eq_u32_e32 vcc, s18, v10
	v_lshrrev_b32_e32 v6, 16, v6
	v_lshl_or_b32 v7, v7, 9, v0
	v_cndmask_b32_e32 v5, v9, v5, vcc
	v_cmp_eq_u32_e32 vcc, s18, v12
	v_lshrrev_b32_e32 v8, 16, v8
	v_cndmask_b32_e32 v7, v11, v7, vcc
	v_and_or_b32 v5, v6, s17, v5
	v_and_or_b32 v6, v8, s17, v7
	v_and_b32_e32 v5, 0xffff, v5
	v_lshl_or_b32 v5, v6, 16, v5
	global_store_dword v[3:4], v5, off
	global_load_dword v7, v30, s[6:7] offset:468
	ds_read2_b32 v[5:6], v31 offset0:117 offset1:130
	v_add_co_u32_e32 v3, vcc, s11, v3
	s_waitcnt lgkmcnt(0)
	v_lshrrev_b32_e32 v8, 16, v5
	s_waitcnt vmcnt(0)
	v_mul_f16_sdwa v9, v8, v7 dst_sel:DWORD dst_unused:UNUSED_PAD src0_sel:DWORD src1_sel:WORD_1
	v_fma_f16 v9, v5, v7, v9
	v_mul_f16_sdwa v5, v5, v7 dst_sel:DWORD dst_unused:UNUSED_PAD src0_sel:DWORD src1_sel:WORD_1
	v_cvt_f32_f16_e32 v9, v9
	v_fma_f16 v5, v7, v8, -v5
	v_cvt_f32_f16_e32 v5, v5
	v_cvt_f64_f32_e32 v[7:8], v9
	v_cvt_f64_f32_e32 v[9:10], v5
	v_mov_b32_e32 v5, s12
	v_mul_f64 v[7:8], v[7:8], s[14:15]
	v_addc_co_u32_e32 v4, vcc, v4, v5, vcc
	v_mul_f64 v[9:10], v[9:10], s[14:15]
	v_and_or_b32 v5, v8, s16, v7
	v_cmp_ne_u32_e32 vcc, 0, v5
	v_lshrrev_b32_e32 v7, 8, v8
	v_and_or_b32 v9, v10, s16, v9
	v_bfe_u32 v11, v8, 20, 11
	v_cndmask_b32_e64 v5, 0, 1, vcc
	v_cmp_ne_u32_e32 vcc, 0, v9
	v_lshrrev_b32_e32 v12, 8, v10
	v_bfe_u32 v13, v10, 20, 11
	v_sub_u32_e32 v14, 0x3f1, v11
	v_cndmask_b32_e64 v9, 0, 1, vcc
	v_and_or_b32 v5, v7, s10, v5
	v_sub_u32_e32 v15, 0x3f1, v13
	v_med3_i32 v7, v14, 0, 13
	v_and_or_b32 v9, v12, s10, v9
	v_or_b32_e32 v14, 0x1000, v5
	v_add_u32_e32 v11, 0xfffffc10, v11
	v_med3_i32 v12, v15, 0, 13
	v_cmp_ne_u32_e32 vcc, 0, v5
	v_or_b32_e32 v16, 0x1000, v9
	v_lshrrev_b32_e32 v18, v7, v14
	v_add_u32_e32 v13, 0xfffffc10, v13
	v_lshl_or_b32 v15, v11, 12, v5
	v_cndmask_b32_e64 v5, 0, 1, vcc
	v_cmp_ne_u32_e32 vcc, 0, v9
	v_lshrrev_b32_e32 v19, v12, v16
	v_lshlrev_b32_e32 v7, v7, v18
	v_lshl_or_b32 v17, v13, 12, v9
	v_cndmask_b32_e64 v9, 0, 1, vcc
	v_lshlrev_b32_e32 v12, v12, v19
	v_cmp_ne_u32_e32 vcc, v7, v14
	v_cndmask_b32_e64 v7, 0, 1, vcc
	v_cmp_ne_u32_e32 vcc, v12, v16
	v_cndmask_b32_e64 v12, 0, 1, vcc
	v_or_b32_e32 v7, v18, v7
	v_cmp_gt_i32_e32 vcc, 1, v11
	v_cndmask_b32_e32 v7, v15, v7, vcc
	v_or_b32_e32 v12, v19, v12
	v_cmp_gt_i32_e32 vcc, 1, v13
	v_and_b32_e32 v14, 7, v7
	v_cndmask_b32_e32 v12, v17, v12, vcc
	v_cmp_lt_i32_e32 vcc, 5, v14
	v_cmp_eq_u32_e64 s[0:1], 3, v14
	v_lshrrev_b32_e32 v7, 2, v7
	v_and_b32_e32 v15, 7, v12
	s_or_b64 vcc, s[0:1], vcc
	v_cmp_lt_i32_e64 s[2:3], 5, v15
	v_cmp_eq_u32_e64 s[4:5], 3, v15
	v_addc_co_u32_e32 v7, vcc, 0, v7, vcc
	v_lshrrev_b32_e32 v12, 2, v12
	s_or_b64 vcc, s[4:5], s[2:3]
	v_addc_co_u32_e32 v12, vcc, 0, v12, vcc
	v_cmp_gt_i32_e32 vcc, 31, v11
	v_cndmask_b32_e32 v7, v0, v7, vcc
	v_cmp_gt_i32_e32 vcc, 31, v13
	v_lshl_or_b32 v5, v5, 9, v0
	v_cndmask_b32_e32 v12, v0, v12, vcc
	v_cmp_eq_u32_e32 vcc, s18, v11
	v_lshrrev_b32_e32 v8, 16, v8
	v_lshl_or_b32 v9, v9, 9, v0
	v_cndmask_b32_e32 v5, v7, v5, vcc
	v_cmp_eq_u32_e32 vcc, s18, v13
	v_lshrrev_b32_e32 v10, 16, v10
	v_cndmask_b32_e32 v7, v12, v9, vcc
	v_and_or_b32 v5, v8, s17, v5
	v_and_or_b32 v7, v10, s17, v7
	v_and_b32_e32 v5, 0xffff, v5
	v_lshl_or_b32 v5, v7, 16, v5
	global_store_dword v[3:4], v5, off
	global_load_dword v5, v30, s[6:7] offset:520
	v_lshrrev_b32_e32 v7, 16, v6
	v_mov_b32_e32 v9, s12
	v_add_co_u32_e32 v3, vcc, s11, v3
	v_addc_co_u32_e32 v4, vcc, v4, v9, vcc
	s_waitcnt vmcnt(0)
	v_mul_f16_sdwa v8, v7, v5 dst_sel:DWORD dst_unused:UNUSED_PAD src0_sel:DWORD src1_sel:WORD_1
	v_fma_f16 v8, v6, v5, v8
	v_mul_f16_sdwa v6, v6, v5 dst_sel:DWORD dst_unused:UNUSED_PAD src0_sel:DWORD src1_sel:WORD_1
	v_cvt_f32_f16_e32 v8, v8
	v_fma_f16 v5, v5, v7, -v6
	v_cvt_f32_f16_e32 v7, v5
	v_cvt_f64_f32_e32 v[5:6], v8
	v_cvt_f64_f32_e32 v[7:8], v7
	v_mul_f64 v[5:6], v[5:6], s[14:15]
	v_mul_f64 v[7:8], v[7:8], s[14:15]
	v_and_or_b32 v5, v6, s16, v5
	v_cmp_ne_u32_e32 vcc, 0, v5
	v_and_or_b32 v7, v8, s16, v7
	v_lshrrev_b32_e32 v9, 8, v6
	v_bfe_u32 v10, v6, 20, 11
	v_cndmask_b32_e64 v5, 0, 1, vcc
	v_cmp_ne_u32_e32 vcc, 0, v7
	v_lshrrev_b32_e32 v11, 8, v8
	v_bfe_u32 v12, v8, 20, 11
	v_sub_u32_e32 v13, 0x3f1, v10
	v_cndmask_b32_e64 v7, 0, 1, vcc
	v_and_or_b32 v5, v9, s10, v5
	v_sub_u32_e32 v14, 0x3f1, v12
	v_med3_i32 v9, v13, 0, 13
	v_and_or_b32 v7, v11, s10, v7
	v_or_b32_e32 v13, 0x1000, v5
	v_add_u32_e32 v10, 0xfffffc10, v10
	v_med3_i32 v11, v14, 0, 13
	v_cmp_ne_u32_e32 vcc, 0, v5
	v_or_b32_e32 v15, 0x1000, v7
	v_lshrrev_b32_e32 v17, v9, v13
	v_add_u32_e32 v12, 0xfffffc10, v12
	v_lshl_or_b32 v14, v10, 12, v5
	v_cndmask_b32_e64 v5, 0, 1, vcc
	v_cmp_ne_u32_e32 vcc, 0, v7
	v_lshrrev_b32_e32 v18, v11, v15
	v_lshlrev_b32_e32 v9, v9, v17
	v_lshl_or_b32 v16, v12, 12, v7
	v_cndmask_b32_e64 v7, 0, 1, vcc
	v_lshlrev_b32_e32 v11, v11, v18
	v_cmp_ne_u32_e32 vcc, v9, v13
	v_cndmask_b32_e64 v9, 0, 1, vcc
	v_cmp_ne_u32_e32 vcc, v11, v15
	v_cndmask_b32_e64 v11, 0, 1, vcc
	v_or_b32_e32 v9, v17, v9
	v_cmp_gt_i32_e32 vcc, 1, v10
	v_cndmask_b32_e32 v9, v14, v9, vcc
	v_or_b32_e32 v11, v18, v11
	v_cmp_gt_i32_e32 vcc, 1, v12
	v_and_b32_e32 v13, 7, v9
	v_cndmask_b32_e32 v11, v16, v11, vcc
	v_cmp_lt_i32_e32 vcc, 5, v13
	v_cmp_eq_u32_e64 s[0:1], 3, v13
	v_lshrrev_b32_e32 v9, 2, v9
	v_and_b32_e32 v14, 7, v11
	s_or_b64 vcc, s[0:1], vcc
	v_cmp_lt_i32_e64 s[2:3], 5, v14
	v_cmp_eq_u32_e64 s[4:5], 3, v14
	v_addc_co_u32_e32 v9, vcc, 0, v9, vcc
	v_lshrrev_b32_e32 v11, 2, v11
	s_or_b64 vcc, s[4:5], s[2:3]
	v_addc_co_u32_e32 v11, vcc, 0, v11, vcc
	v_cmp_gt_i32_e32 vcc, 31, v10
	v_cndmask_b32_e32 v9, v0, v9, vcc
	v_cmp_gt_i32_e32 vcc, 31, v12
	v_lshl_or_b32 v5, v5, 9, v0
	v_cndmask_b32_e32 v11, v0, v11, vcc
	v_cmp_eq_u32_e32 vcc, s18, v10
	v_lshrrev_b32_e32 v6, 16, v6
	v_lshl_or_b32 v7, v7, 9, v0
	v_cndmask_b32_e32 v5, v9, v5, vcc
	v_cmp_eq_u32_e32 vcc, s18, v12
	v_lshrrev_b32_e32 v8, 16, v8
	v_cndmask_b32_e32 v7, v11, v7, vcc
	v_and_or_b32 v5, v6, s17, v5
	v_and_or_b32 v6, v8, s17, v7
	v_and_b32_e32 v5, 0xffff, v5
	v_lshl_or_b32 v5, v6, 16, v5
	global_store_dword v[3:4], v5, off
	global_load_dword v7, v30, s[6:7] offset:572
	ds_read2_b32 v[5:6], v31 offset0:143 offset1:156
	v_add_co_u32_e32 v3, vcc, s11, v3
	s_waitcnt lgkmcnt(0)
	v_lshrrev_b32_e32 v8, 16, v5
	s_waitcnt vmcnt(0)
	v_mul_f16_sdwa v9, v8, v7 dst_sel:DWORD dst_unused:UNUSED_PAD src0_sel:DWORD src1_sel:WORD_1
	v_fma_f16 v9, v5, v7, v9
	v_mul_f16_sdwa v5, v5, v7 dst_sel:DWORD dst_unused:UNUSED_PAD src0_sel:DWORD src1_sel:WORD_1
	v_cvt_f32_f16_e32 v9, v9
	v_fma_f16 v5, v7, v8, -v5
	v_cvt_f32_f16_e32 v5, v5
	v_cvt_f64_f32_e32 v[7:8], v9
	v_cvt_f64_f32_e32 v[9:10], v5
	v_mov_b32_e32 v5, s12
	v_mul_f64 v[7:8], v[7:8], s[14:15]
	v_addc_co_u32_e32 v4, vcc, v4, v5, vcc
	v_mul_f64 v[9:10], v[9:10], s[14:15]
	v_and_or_b32 v5, v8, s16, v7
	v_cmp_ne_u32_e32 vcc, 0, v5
	v_lshrrev_b32_e32 v7, 8, v8
	v_and_or_b32 v9, v10, s16, v9
	v_bfe_u32 v11, v8, 20, 11
	v_cndmask_b32_e64 v5, 0, 1, vcc
	v_cmp_ne_u32_e32 vcc, 0, v9
	v_lshrrev_b32_e32 v12, 8, v10
	v_bfe_u32 v13, v10, 20, 11
	v_sub_u32_e32 v14, 0x3f1, v11
	v_cndmask_b32_e64 v9, 0, 1, vcc
	v_and_or_b32 v5, v7, s10, v5
	v_sub_u32_e32 v15, 0x3f1, v13
	v_med3_i32 v7, v14, 0, 13
	v_and_or_b32 v9, v12, s10, v9
	v_or_b32_e32 v14, 0x1000, v5
	v_add_u32_e32 v11, 0xfffffc10, v11
	v_med3_i32 v12, v15, 0, 13
	v_cmp_ne_u32_e32 vcc, 0, v5
	v_or_b32_e32 v16, 0x1000, v9
	v_lshrrev_b32_e32 v18, v7, v14
	v_add_u32_e32 v13, 0xfffffc10, v13
	v_lshl_or_b32 v15, v11, 12, v5
	v_cndmask_b32_e64 v5, 0, 1, vcc
	v_cmp_ne_u32_e32 vcc, 0, v9
	v_lshrrev_b32_e32 v19, v12, v16
	v_lshlrev_b32_e32 v7, v7, v18
	v_lshl_or_b32 v17, v13, 12, v9
	v_cndmask_b32_e64 v9, 0, 1, vcc
	v_lshlrev_b32_e32 v12, v12, v19
	v_cmp_ne_u32_e32 vcc, v7, v14
	v_cndmask_b32_e64 v7, 0, 1, vcc
	v_cmp_ne_u32_e32 vcc, v12, v16
	v_cndmask_b32_e64 v12, 0, 1, vcc
	v_or_b32_e32 v7, v18, v7
	v_cmp_gt_i32_e32 vcc, 1, v11
	v_cndmask_b32_e32 v7, v15, v7, vcc
	v_or_b32_e32 v12, v19, v12
	v_cmp_gt_i32_e32 vcc, 1, v13
	v_and_b32_e32 v14, 7, v7
	v_cndmask_b32_e32 v12, v17, v12, vcc
	v_cmp_lt_i32_e32 vcc, 5, v14
	v_cmp_eq_u32_e64 s[0:1], 3, v14
	v_lshrrev_b32_e32 v7, 2, v7
	v_and_b32_e32 v15, 7, v12
	s_or_b64 vcc, s[0:1], vcc
	v_cmp_lt_i32_e64 s[2:3], 5, v15
	v_cmp_eq_u32_e64 s[4:5], 3, v15
	v_addc_co_u32_e32 v7, vcc, 0, v7, vcc
	v_lshrrev_b32_e32 v12, 2, v12
	s_or_b64 vcc, s[4:5], s[2:3]
	v_addc_co_u32_e32 v12, vcc, 0, v12, vcc
	v_cmp_gt_i32_e32 vcc, 31, v11
	v_cndmask_b32_e32 v7, v0, v7, vcc
	v_cmp_gt_i32_e32 vcc, 31, v13
	v_lshl_or_b32 v5, v5, 9, v0
	v_cndmask_b32_e32 v12, v0, v12, vcc
	v_cmp_eq_u32_e32 vcc, s18, v11
	v_lshrrev_b32_e32 v8, 16, v8
	v_lshl_or_b32 v9, v9, 9, v0
	v_cndmask_b32_e32 v5, v7, v5, vcc
	v_cmp_eq_u32_e32 vcc, s18, v13
	v_lshrrev_b32_e32 v10, 16, v10
	v_cndmask_b32_e32 v7, v12, v9, vcc
	v_and_or_b32 v5, v8, s17, v5
	v_and_or_b32 v7, v10, s17, v7
	v_and_b32_e32 v5, 0xffff, v5
	v_lshl_or_b32 v5, v7, 16, v5
	global_store_dword v[3:4], v5, off
	global_load_dword v5, v30, s[6:7] offset:624
	v_lshrrev_b32_e32 v7, 16, v6
	v_mov_b32_e32 v9, s12
	v_add_co_u32_e32 v3, vcc, s11, v3
	v_addc_co_u32_e32 v4, vcc, v4, v9, vcc
	s_waitcnt vmcnt(0)
	v_mul_f16_sdwa v8, v7, v5 dst_sel:DWORD dst_unused:UNUSED_PAD src0_sel:DWORD src1_sel:WORD_1
	v_fma_f16 v8, v6, v5, v8
	v_mul_f16_sdwa v6, v6, v5 dst_sel:DWORD dst_unused:UNUSED_PAD src0_sel:DWORD src1_sel:WORD_1
	v_cvt_f32_f16_e32 v8, v8
	v_fma_f16 v5, v5, v7, -v6
	v_cvt_f32_f16_e32 v7, v5
	v_cvt_f64_f32_e32 v[5:6], v8
	v_cvt_f64_f32_e32 v[7:8], v7
	v_mul_f64 v[5:6], v[5:6], s[14:15]
	v_mul_f64 v[7:8], v[7:8], s[14:15]
	v_and_or_b32 v5, v6, s16, v5
	v_cmp_ne_u32_e32 vcc, 0, v5
	v_and_or_b32 v7, v8, s16, v7
	v_lshrrev_b32_e32 v9, 8, v6
	v_bfe_u32 v10, v6, 20, 11
	v_cndmask_b32_e64 v5, 0, 1, vcc
	v_cmp_ne_u32_e32 vcc, 0, v7
	v_lshrrev_b32_e32 v11, 8, v8
	v_bfe_u32 v12, v8, 20, 11
	v_sub_u32_e32 v13, 0x3f1, v10
	v_cndmask_b32_e64 v7, 0, 1, vcc
	v_and_or_b32 v5, v9, s10, v5
	v_sub_u32_e32 v14, 0x3f1, v12
	v_med3_i32 v9, v13, 0, 13
	v_and_or_b32 v7, v11, s10, v7
	v_or_b32_e32 v13, 0x1000, v5
	v_add_u32_e32 v10, 0xfffffc10, v10
	v_med3_i32 v11, v14, 0, 13
	v_cmp_ne_u32_e32 vcc, 0, v5
	v_or_b32_e32 v15, 0x1000, v7
	v_lshrrev_b32_e32 v17, v9, v13
	v_add_u32_e32 v12, 0xfffffc10, v12
	v_lshl_or_b32 v14, v10, 12, v5
	v_cndmask_b32_e64 v5, 0, 1, vcc
	v_cmp_ne_u32_e32 vcc, 0, v7
	v_lshrrev_b32_e32 v18, v11, v15
	v_lshlrev_b32_e32 v9, v9, v17
	v_lshl_or_b32 v16, v12, 12, v7
	v_cndmask_b32_e64 v7, 0, 1, vcc
	v_lshlrev_b32_e32 v11, v11, v18
	v_cmp_ne_u32_e32 vcc, v9, v13
	v_cndmask_b32_e64 v9, 0, 1, vcc
	v_cmp_ne_u32_e32 vcc, v11, v15
	v_cndmask_b32_e64 v11, 0, 1, vcc
	v_or_b32_e32 v9, v17, v9
	v_cmp_gt_i32_e32 vcc, 1, v10
	v_cndmask_b32_e32 v9, v14, v9, vcc
	v_or_b32_e32 v11, v18, v11
	v_cmp_gt_i32_e32 vcc, 1, v12
	v_and_b32_e32 v13, 7, v9
	v_cndmask_b32_e32 v11, v16, v11, vcc
	v_cmp_lt_i32_e32 vcc, 5, v13
	v_cmp_eq_u32_e64 s[0:1], 3, v13
	v_lshrrev_b32_e32 v9, 2, v9
	v_and_b32_e32 v14, 7, v11
	s_or_b64 vcc, s[0:1], vcc
	v_cmp_lt_i32_e64 s[2:3], 5, v14
	v_cmp_eq_u32_e64 s[4:5], 3, v14
	v_addc_co_u32_e32 v9, vcc, 0, v9, vcc
	v_lshrrev_b32_e32 v11, 2, v11
	s_or_b64 vcc, s[4:5], s[2:3]
	v_addc_co_u32_e32 v11, vcc, 0, v11, vcc
	v_cmp_gt_i32_e32 vcc, 31, v10
	v_cndmask_b32_e32 v9, v0, v9, vcc
	v_cmp_gt_i32_e32 vcc, 31, v12
	v_lshl_or_b32 v5, v5, 9, v0
	v_cndmask_b32_e32 v11, v0, v11, vcc
	v_cmp_eq_u32_e32 vcc, s18, v10
	v_lshrrev_b32_e32 v6, 16, v6
	v_lshl_or_b32 v7, v7, 9, v0
	v_cndmask_b32_e32 v5, v9, v5, vcc
	v_cmp_eq_u32_e32 vcc, s18, v12
	v_lshrrev_b32_e32 v8, 16, v8
	v_cndmask_b32_e32 v7, v11, v7, vcc
	v_and_or_b32 v5, v6, s17, v5
	v_and_or_b32 v6, v8, s17, v7
	v_and_b32_e32 v5, 0xffff, v5
	v_lshl_or_b32 v5, v6, 16, v5
	global_store_dword v[3:4], v5, off
	global_load_dword v7, v30, s[6:7] offset:676
	ds_read2_b32 v[5:6], v31 offset0:169 offset1:182
	v_add_co_u32_e32 v3, vcc, s11, v3
	s_waitcnt lgkmcnt(0)
	v_lshrrev_b32_e32 v8, 16, v5
	s_waitcnt vmcnt(0)
	v_mul_f16_sdwa v9, v8, v7 dst_sel:DWORD dst_unused:UNUSED_PAD src0_sel:DWORD src1_sel:WORD_1
	v_fma_f16 v9, v5, v7, v9
	v_mul_f16_sdwa v5, v5, v7 dst_sel:DWORD dst_unused:UNUSED_PAD src0_sel:DWORD src1_sel:WORD_1
	v_cvt_f32_f16_e32 v9, v9
	v_fma_f16 v5, v7, v8, -v5
	v_cvt_f32_f16_e32 v5, v5
	v_cvt_f64_f32_e32 v[7:8], v9
	v_cvt_f64_f32_e32 v[9:10], v5
	v_mov_b32_e32 v5, s12
	v_mul_f64 v[7:8], v[7:8], s[14:15]
	v_addc_co_u32_e32 v4, vcc, v4, v5, vcc
	v_mul_f64 v[9:10], v[9:10], s[14:15]
	v_and_or_b32 v5, v8, s16, v7
	v_cmp_ne_u32_e32 vcc, 0, v5
	v_lshrrev_b32_e32 v7, 8, v8
	v_and_or_b32 v9, v10, s16, v9
	v_bfe_u32 v11, v8, 20, 11
	v_cndmask_b32_e64 v5, 0, 1, vcc
	v_cmp_ne_u32_e32 vcc, 0, v9
	v_lshrrev_b32_e32 v12, 8, v10
	v_bfe_u32 v13, v10, 20, 11
	v_sub_u32_e32 v14, 0x3f1, v11
	v_cndmask_b32_e64 v9, 0, 1, vcc
	v_and_or_b32 v5, v7, s10, v5
	v_sub_u32_e32 v15, 0x3f1, v13
	v_med3_i32 v7, v14, 0, 13
	v_and_or_b32 v9, v12, s10, v9
	v_or_b32_e32 v14, 0x1000, v5
	v_add_u32_e32 v11, 0xfffffc10, v11
	v_med3_i32 v12, v15, 0, 13
	v_cmp_ne_u32_e32 vcc, 0, v5
	v_or_b32_e32 v16, 0x1000, v9
	v_lshrrev_b32_e32 v18, v7, v14
	v_add_u32_e32 v13, 0xfffffc10, v13
	v_lshl_or_b32 v15, v11, 12, v5
	v_cndmask_b32_e64 v5, 0, 1, vcc
	v_cmp_ne_u32_e32 vcc, 0, v9
	v_lshrrev_b32_e32 v19, v12, v16
	v_lshlrev_b32_e32 v7, v7, v18
	v_lshl_or_b32 v17, v13, 12, v9
	v_cndmask_b32_e64 v9, 0, 1, vcc
	v_lshlrev_b32_e32 v12, v12, v19
	v_cmp_ne_u32_e32 vcc, v7, v14
	v_cndmask_b32_e64 v7, 0, 1, vcc
	v_cmp_ne_u32_e32 vcc, v12, v16
	v_cndmask_b32_e64 v12, 0, 1, vcc
	v_or_b32_e32 v7, v18, v7
	v_cmp_gt_i32_e32 vcc, 1, v11
	v_cndmask_b32_e32 v7, v15, v7, vcc
	v_or_b32_e32 v12, v19, v12
	v_cmp_gt_i32_e32 vcc, 1, v13
	v_and_b32_e32 v14, 7, v7
	v_cndmask_b32_e32 v12, v17, v12, vcc
	v_cmp_lt_i32_e32 vcc, 5, v14
	v_cmp_eq_u32_e64 s[0:1], 3, v14
	v_lshrrev_b32_e32 v7, 2, v7
	v_and_b32_e32 v15, 7, v12
	s_or_b64 vcc, s[0:1], vcc
	v_cmp_lt_i32_e64 s[2:3], 5, v15
	v_cmp_eq_u32_e64 s[4:5], 3, v15
	v_addc_co_u32_e32 v7, vcc, 0, v7, vcc
	v_lshrrev_b32_e32 v12, 2, v12
	s_or_b64 vcc, s[4:5], s[2:3]
	v_addc_co_u32_e32 v12, vcc, 0, v12, vcc
	v_cmp_gt_i32_e32 vcc, 31, v11
	v_cndmask_b32_e32 v7, v0, v7, vcc
	v_cmp_gt_i32_e32 vcc, 31, v13
	v_lshl_or_b32 v5, v5, 9, v0
	v_cndmask_b32_e32 v12, v0, v12, vcc
	v_cmp_eq_u32_e32 vcc, s18, v11
	v_lshrrev_b32_e32 v8, 16, v8
	v_lshl_or_b32 v9, v9, 9, v0
	v_cndmask_b32_e32 v5, v7, v5, vcc
	v_cmp_eq_u32_e32 vcc, s18, v13
	v_lshrrev_b32_e32 v10, 16, v10
	v_cndmask_b32_e32 v7, v12, v9, vcc
	v_and_or_b32 v5, v8, s17, v5
	v_and_or_b32 v7, v10, s17, v7
	v_and_b32_e32 v5, 0xffff, v5
	v_lshl_or_b32 v5, v7, 16, v5
	global_store_dword v[3:4], v5, off
	global_load_dword v5, v30, s[6:7] offset:728
	v_lshrrev_b32_e32 v7, 16, v6
	v_mov_b32_e32 v9, s12
	v_add_co_u32_e32 v3, vcc, s11, v3
	v_addc_co_u32_e32 v4, vcc, v4, v9, vcc
	s_waitcnt vmcnt(0)
	v_mul_f16_sdwa v8, v7, v5 dst_sel:DWORD dst_unused:UNUSED_PAD src0_sel:DWORD src1_sel:WORD_1
	v_fma_f16 v8, v6, v5, v8
	v_mul_f16_sdwa v6, v6, v5 dst_sel:DWORD dst_unused:UNUSED_PAD src0_sel:DWORD src1_sel:WORD_1
	v_cvt_f32_f16_e32 v8, v8
	v_fma_f16 v5, v5, v7, -v6
	v_cvt_f32_f16_e32 v7, v5
	v_cvt_f64_f32_e32 v[5:6], v8
	v_cvt_f64_f32_e32 v[7:8], v7
	v_mul_f64 v[5:6], v[5:6], s[14:15]
	v_mul_f64 v[7:8], v[7:8], s[14:15]
	v_and_or_b32 v5, v6, s16, v5
	v_cmp_ne_u32_e32 vcc, 0, v5
	v_and_or_b32 v7, v8, s16, v7
	v_lshrrev_b32_e32 v9, 8, v6
	v_bfe_u32 v10, v6, 20, 11
	v_cndmask_b32_e64 v5, 0, 1, vcc
	v_cmp_ne_u32_e32 vcc, 0, v7
	v_lshrrev_b32_e32 v11, 8, v8
	v_bfe_u32 v12, v8, 20, 11
	v_sub_u32_e32 v13, 0x3f1, v10
	v_cndmask_b32_e64 v7, 0, 1, vcc
	v_and_or_b32 v5, v9, s10, v5
	v_sub_u32_e32 v14, 0x3f1, v12
	v_med3_i32 v9, v13, 0, 13
	v_and_or_b32 v7, v11, s10, v7
	v_or_b32_e32 v13, 0x1000, v5
	v_add_u32_e32 v10, 0xfffffc10, v10
	v_med3_i32 v11, v14, 0, 13
	v_cmp_ne_u32_e32 vcc, 0, v5
	v_or_b32_e32 v15, 0x1000, v7
	v_lshrrev_b32_e32 v17, v9, v13
	v_add_u32_e32 v12, 0xfffffc10, v12
	v_lshl_or_b32 v14, v10, 12, v5
	v_cndmask_b32_e64 v5, 0, 1, vcc
	v_cmp_ne_u32_e32 vcc, 0, v7
	v_lshrrev_b32_e32 v18, v11, v15
	v_lshlrev_b32_e32 v9, v9, v17
	v_lshl_or_b32 v16, v12, 12, v7
	v_cndmask_b32_e64 v7, 0, 1, vcc
	v_lshlrev_b32_e32 v11, v11, v18
	v_cmp_ne_u32_e32 vcc, v9, v13
	v_cndmask_b32_e64 v9, 0, 1, vcc
	v_cmp_ne_u32_e32 vcc, v11, v15
	v_cndmask_b32_e64 v11, 0, 1, vcc
	v_or_b32_e32 v9, v17, v9
	v_cmp_gt_i32_e32 vcc, 1, v10
	v_cndmask_b32_e32 v9, v14, v9, vcc
	v_or_b32_e32 v11, v18, v11
	v_cmp_gt_i32_e32 vcc, 1, v12
	v_and_b32_e32 v13, 7, v9
	v_cndmask_b32_e32 v11, v16, v11, vcc
	v_cmp_lt_i32_e32 vcc, 5, v13
	v_cmp_eq_u32_e64 s[0:1], 3, v13
	v_lshrrev_b32_e32 v9, 2, v9
	v_and_b32_e32 v14, 7, v11
	s_or_b64 vcc, s[0:1], vcc
	v_cmp_lt_i32_e64 s[2:3], 5, v14
	v_cmp_eq_u32_e64 s[4:5], 3, v14
	v_addc_co_u32_e32 v9, vcc, 0, v9, vcc
	v_lshrrev_b32_e32 v11, 2, v11
	s_or_b64 vcc, s[4:5], s[2:3]
	v_addc_co_u32_e32 v11, vcc, 0, v11, vcc
	v_cmp_gt_i32_e32 vcc, 31, v10
	v_cndmask_b32_e32 v9, v0, v9, vcc
	v_cmp_gt_i32_e32 vcc, 31, v12
	v_lshl_or_b32 v5, v5, 9, v0
	v_cndmask_b32_e32 v11, v0, v11, vcc
	v_cmp_eq_u32_e32 vcc, s18, v10
	v_lshrrev_b32_e32 v6, 16, v6
	v_lshl_or_b32 v7, v7, 9, v0
	v_cndmask_b32_e32 v5, v9, v5, vcc
	v_cmp_eq_u32_e32 vcc, s18, v12
	v_lshrrev_b32_e32 v8, 16, v8
	v_cndmask_b32_e32 v7, v11, v7, vcc
	v_and_or_b32 v5, v6, s17, v5
	v_and_or_b32 v6, v8, s17, v7
	v_and_b32_e32 v5, 0xffff, v5
	v_lshl_or_b32 v5, v6, 16, v5
	global_store_dword v[3:4], v5, off
	global_load_dword v7, v30, s[6:7] offset:780
	ds_read2_b32 v[5:6], v31 offset0:195 offset1:208
	v_add_co_u32_e32 v3, vcc, s11, v3
	s_waitcnt lgkmcnt(0)
	v_lshrrev_b32_e32 v8, 16, v5
	s_waitcnt vmcnt(0)
	v_mul_f16_sdwa v9, v8, v7 dst_sel:DWORD dst_unused:UNUSED_PAD src0_sel:DWORD src1_sel:WORD_1
	v_fma_f16 v9, v5, v7, v9
	v_mul_f16_sdwa v5, v5, v7 dst_sel:DWORD dst_unused:UNUSED_PAD src0_sel:DWORD src1_sel:WORD_1
	v_cvt_f32_f16_e32 v9, v9
	v_fma_f16 v5, v7, v8, -v5
	v_cvt_f32_f16_e32 v5, v5
	v_cvt_f64_f32_e32 v[7:8], v9
	v_cvt_f64_f32_e32 v[9:10], v5
	v_mov_b32_e32 v5, s12
	v_mul_f64 v[7:8], v[7:8], s[14:15]
	v_addc_co_u32_e32 v4, vcc, v4, v5, vcc
	v_mul_f64 v[9:10], v[9:10], s[14:15]
	v_and_or_b32 v5, v8, s16, v7
	v_cmp_ne_u32_e32 vcc, 0, v5
	v_lshrrev_b32_e32 v7, 8, v8
	v_and_or_b32 v9, v10, s16, v9
	v_bfe_u32 v11, v8, 20, 11
	v_cndmask_b32_e64 v5, 0, 1, vcc
	v_cmp_ne_u32_e32 vcc, 0, v9
	v_lshrrev_b32_e32 v12, 8, v10
	v_bfe_u32 v13, v10, 20, 11
	v_sub_u32_e32 v14, 0x3f1, v11
	v_cndmask_b32_e64 v9, 0, 1, vcc
	v_and_or_b32 v5, v7, s10, v5
	v_sub_u32_e32 v15, 0x3f1, v13
	v_med3_i32 v7, v14, 0, 13
	v_and_or_b32 v9, v12, s10, v9
	v_or_b32_e32 v14, 0x1000, v5
	v_add_u32_e32 v11, 0xfffffc10, v11
	v_med3_i32 v12, v15, 0, 13
	v_cmp_ne_u32_e32 vcc, 0, v5
	v_or_b32_e32 v16, 0x1000, v9
	v_lshrrev_b32_e32 v18, v7, v14
	v_add_u32_e32 v13, 0xfffffc10, v13
	v_lshl_or_b32 v15, v11, 12, v5
	v_cndmask_b32_e64 v5, 0, 1, vcc
	v_cmp_ne_u32_e32 vcc, 0, v9
	v_lshrrev_b32_e32 v19, v12, v16
	v_lshlrev_b32_e32 v7, v7, v18
	v_lshl_or_b32 v17, v13, 12, v9
	v_cndmask_b32_e64 v9, 0, 1, vcc
	v_lshlrev_b32_e32 v12, v12, v19
	v_cmp_ne_u32_e32 vcc, v7, v14
	v_cndmask_b32_e64 v7, 0, 1, vcc
	v_cmp_ne_u32_e32 vcc, v12, v16
	v_cndmask_b32_e64 v12, 0, 1, vcc
	v_or_b32_e32 v7, v18, v7
	v_cmp_gt_i32_e32 vcc, 1, v11
	v_cndmask_b32_e32 v7, v15, v7, vcc
	v_or_b32_e32 v12, v19, v12
	v_cmp_gt_i32_e32 vcc, 1, v13
	v_and_b32_e32 v14, 7, v7
	v_cndmask_b32_e32 v12, v17, v12, vcc
	v_cmp_lt_i32_e32 vcc, 5, v14
	v_cmp_eq_u32_e64 s[0:1], 3, v14
	v_lshrrev_b32_e32 v7, 2, v7
	v_and_b32_e32 v15, 7, v12
	s_or_b64 vcc, s[0:1], vcc
	v_cmp_lt_i32_e64 s[2:3], 5, v15
	v_cmp_eq_u32_e64 s[4:5], 3, v15
	v_addc_co_u32_e32 v7, vcc, 0, v7, vcc
	v_lshrrev_b32_e32 v12, 2, v12
	s_or_b64 vcc, s[4:5], s[2:3]
	v_addc_co_u32_e32 v12, vcc, 0, v12, vcc
	v_cmp_gt_i32_e32 vcc, 31, v11
	v_cndmask_b32_e32 v7, v0, v7, vcc
	v_cmp_gt_i32_e32 vcc, 31, v13
	v_lshl_or_b32 v5, v5, 9, v0
	v_cndmask_b32_e32 v12, v0, v12, vcc
	v_cmp_eq_u32_e32 vcc, s18, v11
	v_lshrrev_b32_e32 v8, 16, v8
	v_lshl_or_b32 v9, v9, 9, v0
	v_cndmask_b32_e32 v5, v7, v5, vcc
	v_cmp_eq_u32_e32 vcc, s18, v13
	v_lshrrev_b32_e32 v10, 16, v10
	v_cndmask_b32_e32 v7, v12, v9, vcc
	v_and_or_b32 v5, v8, s17, v5
	v_and_or_b32 v7, v10, s17, v7
	v_and_b32_e32 v5, 0xffff, v5
	v_lshl_or_b32 v5, v7, 16, v5
	global_store_dword v[3:4], v5, off
	global_load_dword v5, v30, s[6:7] offset:832
	v_lshrrev_b32_e32 v7, 16, v6
	v_or_b32_e32 v9, 0xd0, v29
	v_mad_u64_u32 v[3:4], s[0:1], s8, v9, 0
	s_waitcnt vmcnt(0)
	v_mul_f16_sdwa v8, v7, v5 dst_sel:DWORD dst_unused:UNUSED_PAD src0_sel:DWORD src1_sel:WORD_1
	v_fma_f16 v8, v6, v5, v8
	v_cvt_f32_f16_e32 v8, v8
	v_mul_f16_sdwa v6, v6, v5 dst_sel:DWORD dst_unused:UNUSED_PAD src0_sel:DWORD src1_sel:WORD_1
	v_fma_f16 v5, v5, v7, -v6
	v_cvt_f32_f16_e32 v7, v5
	v_cvt_f64_f32_e32 v[5:6], v8
	v_cvt_f64_f32_e32 v[7:8], v7
	v_mul_f64 v[5:6], v[5:6], s[14:15]
	v_mul_f64 v[7:8], v[7:8], s[14:15]
	v_mad_u64_u32 v[9:10], s[0:1], s9, v9, v[4:5]
	v_and_or_b32 v5, v6, s16, v5
	v_and_or_b32 v7, v8, s16, v7
	v_cmp_ne_u32_e32 vcc, 0, v5
	v_mov_b32_e32 v4, v9
	v_lshrrev_b32_e32 v9, 8, v6
	v_bfe_u32 v10, v6, 20, 11
	v_cndmask_b32_e64 v5, 0, 1, vcc
	v_cmp_ne_u32_e32 vcc, 0, v7
	v_lshrrev_b32_e32 v11, 8, v8
	v_bfe_u32 v12, v8, 20, 11
	v_sub_u32_e32 v13, 0x3f1, v10
	v_cndmask_b32_e64 v7, 0, 1, vcc
	v_and_or_b32 v5, v9, s10, v5
	v_sub_u32_e32 v14, 0x3f1, v12
	v_med3_i32 v9, v13, 0, 13
	v_and_or_b32 v7, v11, s10, v7
	v_or_b32_e32 v13, 0x1000, v5
	v_add_u32_e32 v10, 0xfffffc10, v10
	v_med3_i32 v11, v14, 0, 13
	v_cmp_ne_u32_e32 vcc, 0, v5
	v_or_b32_e32 v15, 0x1000, v7
	v_lshrrev_b32_e32 v17, v9, v13
	v_add_u32_e32 v12, 0xfffffc10, v12
	v_lshl_or_b32 v14, v10, 12, v5
	v_cndmask_b32_e64 v5, 0, 1, vcc
	v_cmp_ne_u32_e32 vcc, 0, v7
	v_lshrrev_b32_e32 v18, v11, v15
	v_lshlrev_b32_e32 v9, v9, v17
	v_lshl_or_b32 v16, v12, 12, v7
	v_cndmask_b32_e64 v7, 0, 1, vcc
	v_lshlrev_b32_e32 v11, v11, v18
	v_cmp_ne_u32_e32 vcc, v9, v13
	v_cndmask_b32_e64 v9, 0, 1, vcc
	v_cmp_ne_u32_e32 vcc, v11, v15
	v_cndmask_b32_e64 v11, 0, 1, vcc
	v_or_b32_e32 v9, v17, v9
	v_cmp_gt_i32_e32 vcc, 1, v10
	v_cndmask_b32_e32 v9, v14, v9, vcc
	v_or_b32_e32 v11, v18, v11
	v_cmp_gt_i32_e32 vcc, 1, v12
	v_and_b32_e32 v13, 7, v9
	v_cndmask_b32_e32 v11, v16, v11, vcc
	v_cmp_lt_i32_e32 vcc, 5, v13
	v_cmp_eq_u32_e64 s[0:1], 3, v13
	v_lshrrev_b32_e32 v9, 2, v9
	v_and_b32_e32 v14, 7, v11
	s_or_b64 vcc, s[0:1], vcc
	v_cmp_lt_i32_e64 s[2:3], 5, v14
	v_cmp_eq_u32_e64 s[4:5], 3, v14
	v_addc_co_u32_e32 v9, vcc, 0, v9, vcc
	v_lshrrev_b32_e32 v11, 2, v11
	s_or_b64 vcc, s[4:5], s[2:3]
	v_addc_co_u32_e32 v11, vcc, 0, v11, vcc
	v_cmp_gt_i32_e32 vcc, 31, v10
	v_cndmask_b32_e32 v9, v0, v9, vcc
	v_cmp_gt_i32_e32 vcc, 31, v12
	v_lshl_or_b32 v5, v5, 9, v0
	v_lshl_or_b32 v7, v7, 9, v0
	v_cndmask_b32_e32 v0, v0, v11, vcc
	v_cmp_eq_u32_e32 vcc, s18, v10
	v_lshrrev_b32_e32 v6, 16, v6
	v_cndmask_b32_e32 v5, v9, v5, vcc
	v_cmp_eq_u32_e32 vcc, s18, v12
	v_lshlrev_b64 v[3:4], 2, v[3:4]
	v_lshrrev_b32_e32 v8, 16, v8
	v_cndmask_b32_e32 v0, v0, v7, vcc
	v_and_or_b32 v5, v6, s17, v5
	v_and_or_b32 v0, v8, s17, v0
	v_and_b32_e32 v5, 0xffff, v5
	v_lshl_or_b32 v5, v0, 16, v5
	v_add_co_u32_e32 v0, vcc, v1, v3
	v_addc_co_u32_e32 v1, vcc, v2, v4, vcc
	global_store_dword v[0:1], v5, off
.LBB0_15:
	s_endpgm
	.section	.rodata,"a",@progbits
	.p2align	6, 0x0
	.amdhsa_kernel bluestein_single_back_len221_dim1_half_op_CI_CI
		.amdhsa_group_segment_fixed_size 6188
		.amdhsa_private_segment_fixed_size 0
		.amdhsa_kernarg_size 104
		.amdhsa_user_sgpr_count 6
		.amdhsa_user_sgpr_private_segment_buffer 1
		.amdhsa_user_sgpr_dispatch_ptr 0
		.amdhsa_user_sgpr_queue_ptr 0
		.amdhsa_user_sgpr_kernarg_segment_ptr 1
		.amdhsa_user_sgpr_dispatch_id 0
		.amdhsa_user_sgpr_flat_scratch_init 0
		.amdhsa_user_sgpr_private_segment_size 0
		.amdhsa_uses_dynamic_stack 0
		.amdhsa_system_sgpr_private_segment_wavefront_offset 0
		.amdhsa_system_sgpr_workgroup_id_x 1
		.amdhsa_system_sgpr_workgroup_id_y 0
		.amdhsa_system_sgpr_workgroup_id_z 0
		.amdhsa_system_sgpr_workgroup_info 0
		.amdhsa_system_vgpr_workitem_id 0
		.amdhsa_next_free_vgpr 254
		.amdhsa_next_free_sgpr 35
		.amdhsa_reserve_vcc 1
		.amdhsa_reserve_flat_scratch 0
		.amdhsa_float_round_mode_32 0
		.amdhsa_float_round_mode_16_64 0
		.amdhsa_float_denorm_mode_32 3
		.amdhsa_float_denorm_mode_16_64 3
		.amdhsa_dx10_clamp 1
		.amdhsa_ieee_mode 1
		.amdhsa_fp16_overflow 0
		.amdhsa_exception_fp_ieee_invalid_op 0
		.amdhsa_exception_fp_denorm_src 0
		.amdhsa_exception_fp_ieee_div_zero 0
		.amdhsa_exception_fp_ieee_overflow 0
		.amdhsa_exception_fp_ieee_underflow 0
		.amdhsa_exception_fp_ieee_inexact 0
		.amdhsa_exception_int_div_zero 0
	.end_amdhsa_kernel
	.text
.Lfunc_end0:
	.size	bluestein_single_back_len221_dim1_half_op_CI_CI, .Lfunc_end0-bluestein_single_back_len221_dim1_half_op_CI_CI
                                        ; -- End function
	.section	.AMDGPU.csdata,"",@progbits
; Kernel info:
; codeLenInByte = 28536
; NumSgprs: 39
; NumVgprs: 254
; ScratchSize: 0
; MemoryBound: 0
; FloatMode: 240
; IeeeMode: 1
; LDSByteSize: 6188 bytes/workgroup (compile time only)
; SGPRBlocks: 4
; VGPRBlocks: 63
; NumSGPRsForWavesPerEU: 39
; NumVGPRsForWavesPerEU: 254
; Occupancy: 1
; WaveLimiterHint : 1
; COMPUTE_PGM_RSRC2:SCRATCH_EN: 0
; COMPUTE_PGM_RSRC2:USER_SGPR: 6
; COMPUTE_PGM_RSRC2:TRAP_HANDLER: 0
; COMPUTE_PGM_RSRC2:TGID_X_EN: 1
; COMPUTE_PGM_RSRC2:TGID_Y_EN: 0
; COMPUTE_PGM_RSRC2:TGID_Z_EN: 0
; COMPUTE_PGM_RSRC2:TIDIG_COMP_CNT: 0
	.type	__hip_cuid_7c96711d3cf06f3c,@object ; @__hip_cuid_7c96711d3cf06f3c
	.section	.bss,"aw",@nobits
	.globl	__hip_cuid_7c96711d3cf06f3c
__hip_cuid_7c96711d3cf06f3c:
	.byte	0                               ; 0x0
	.size	__hip_cuid_7c96711d3cf06f3c, 1

	.ident	"AMD clang version 19.0.0git (https://github.com/RadeonOpenCompute/llvm-project roc-6.4.0 25133 c7fe45cf4b819c5991fe208aaa96edf142730f1d)"
	.section	".note.GNU-stack","",@progbits
	.addrsig
	.addrsig_sym __hip_cuid_7c96711d3cf06f3c
	.amdgpu_metadata
---
amdhsa.kernels:
  - .args:
      - .actual_access:  read_only
        .address_space:  global
        .offset:         0
        .size:           8
        .value_kind:     global_buffer
      - .actual_access:  read_only
        .address_space:  global
        .offset:         8
        .size:           8
        .value_kind:     global_buffer
      - .actual_access:  read_only
        .address_space:  global
        .offset:         16
        .size:           8
        .value_kind:     global_buffer
      - .actual_access:  read_only
        .address_space:  global
        .offset:         24
        .size:           8
        .value_kind:     global_buffer
      - .actual_access:  read_only
        .address_space:  global
        .offset:         32
        .size:           8
        .value_kind:     global_buffer
      - .offset:         40
        .size:           8
        .value_kind:     by_value
      - .address_space:  global
        .offset:         48
        .size:           8
        .value_kind:     global_buffer
      - .address_space:  global
        .offset:         56
        .size:           8
        .value_kind:     global_buffer
      - .address_space:  global
        .offset:         64
        .size:           8
        .value_kind:     global_buffer
      - .address_space:  global
        .offset:         72
        .size:           8
        .value_kind:     global_buffer
      - .offset:         80
        .size:           4
        .value_kind:     by_value
      - .address_space:  global
        .offset:         88
        .size:           8
        .value_kind:     global_buffer
      - .address_space:  global
        .offset:         96
        .size:           8
        .value_kind:     global_buffer
    .group_segment_fixed_size: 6188
    .kernarg_segment_align: 8
    .kernarg_segment_size: 104
    .language:       OpenCL C
    .language_version:
      - 2
      - 0
    .max_flat_workgroup_size: 119
    .name:           bluestein_single_back_len221_dim1_half_op_CI_CI
    .private_segment_fixed_size: 0
    .sgpr_count:     39
    .sgpr_spill_count: 0
    .symbol:         bluestein_single_back_len221_dim1_half_op_CI_CI.kd
    .uniform_work_group_size: 1
    .uses_dynamic_stack: false
    .vgpr_count:     254
    .vgpr_spill_count: 0
    .wavefront_size: 64
amdhsa.target:   amdgcn-amd-amdhsa--gfx906
amdhsa.version:
  - 1
  - 2
...

	.end_amdgpu_metadata
